;; amdgpu-corpus repo=pytorch/pytorch kind=compiled arch=gfx90a opt=O3
	.text
	.amdgcn_target "amdgcn-amd-amdhsa--gfx90a"
	.amdhsa_code_object_version 6
	.p2align	2                               ; -- Begin function _ZN2at6native25elementwise_kernel_helperILb0EZZZNS0_12_GLOBAL__N_121bessel_j0_kernel_cudaERNS_18TensorIteratorBaseEENKUlvE_clEvENKUlvE_clEvEUldE_NS0_6memory8policies11unroll_baseILi256ESt5arrayIPcLm2EE23TrivialOffsetCalculatorILi1EjESF_NS8_15LoadWithoutCastENS8_16StoreWithoutCastELi4ELi1EEEEEvT0_T1_
	.type	_ZN2at6native25elementwise_kernel_helperILb0EZZZNS0_12_GLOBAL__N_121bessel_j0_kernel_cudaERNS_18TensorIteratorBaseEENKUlvE_clEvENKUlvE_clEvEUldE_NS0_6memory8policies11unroll_baseILi256ESt5arrayIPcLm2EE23TrivialOffsetCalculatorILi1EjESF_NS8_15LoadWithoutCastENS8_16StoreWithoutCastELi4ELi1EEEEEvT0_T1_,@function
_ZN2at6native25elementwise_kernel_helperILb0EZZZNS0_12_GLOBAL__N_121bessel_j0_kernel_cudaERNS_18TensorIteratorBaseEENKUlvE_clEvENKUlvE_clEvEUldE_NS0_6memory8policies11unroll_baseILi256ESt5arrayIPcLm2EE23TrivialOffsetCalculatorILi1EjESF_NS8_15LoadWithoutCastENS8_16StoreWithoutCastELi4ELi1EEEEEvT0_T1_: ; @_ZN2at6native25elementwise_kernel_helperILb0EZZZNS0_12_GLOBAL__N_121bessel_j0_kernel_cudaERNS_18TensorIteratorBaseEENKUlvE_clEvENKUlvE_clEvEUldE_NS0_6memory8policies11unroll_baseILi256ESt5arrayIPcLm2EE23TrivialOffsetCalculatorILi1EjESF_NS8_15LoadWithoutCastENS8_16StoreWithoutCastELi4ELi1EEEEEvT0_T1_
; %bb.0:
	s_waitcnt vmcnt(0) expcnt(0) lgkmcnt(0)
	s_or_saveexec_b64 s[4:5], -1
	buffer_store_dword v40, off, s[0:3], s32 ; 4-byte Folded Spill
	s_mov_b64 exec, s[4:5]
	v_writelane_b32 v40, s34, 0
	v_writelane_b32 v40, s35, 1
	v_writelane_b32 v40, s36, 2
	v_writelane_b32 v40, s37, 3
	v_writelane_b32 v40, s38, 4
	v_writelane_b32 v40, s39, 5
	v_writelane_b32 v40, s30, 6
	v_writelane_b32 v40, s31, 7
	v_and_b32_e32 v5, 0x3ff, v31
	s_lshl_b32 s26, s12, 10
	v_pk_mov_b32 v[20:21], 0, 0
	v_cmp_lt_i32_e64 s[4:5], v5, v4
	v_or_b32_e32 v14, s26, v5
	v_pk_mov_b32 v[22:23], v[20:21], v[20:21] op_sel:[0,1]
	v_mov_b32_e32 v6, v5
	s_and_saveexec_b64 s[6:7], s[4:5]
	s_cbranch_execz .LBB0_2
; %bb.1:
	v_mov_b32_e32 v15, 0
	v_lshlrev_b64 v[6:7], 3, v[14:15]
	v_add_co_u32_e32 v6, vcc, v2, v6
	v_addc_co_u32_e32 v7, vcc, v3, v7, vcc
	flat_load_dwordx2 v[22:23], v[6:7]
	v_add_u32_e32 v6, 0x100, v5
.LBB0_2:
	s_or_b64 exec, exec, s[6:7]
	v_cmp_lt_i32_e32 vcc, v6, v4
	s_and_saveexec_b64 s[6:7], vcc
	s_cbranch_execz .LBB0_4
; %bb.3:
	v_add_u32_e32 v8, s26, v6
	v_mov_b32_e32 v9, 0
	v_lshlrev_b64 v[8:9], 3, v[8:9]
	v_add_co_u32_e32 v8, vcc, v2, v8
	v_addc_co_u32_e32 v9, vcc, v3, v9, vcc
	flat_load_dwordx2 v[20:21], v[8:9]
	v_add_u32_e32 v6, 0x100, v6
.LBB0_4:
	s_or_b64 exec, exec, s[6:7]
	v_pk_mov_b32 v[16:17], 0, 0
	v_cmp_lt_i32_e32 vcc, v6, v4
	v_pk_mov_b32 v[18:19], v[16:17], v[16:17] op_sel:[0,1]
	s_and_saveexec_b64 s[6:7], vcc
	s_cbranch_execz .LBB0_7
; %bb.5:
	v_add_u32_e32 v8, s26, v6
	v_mov_b32_e32 v9, 0
	v_lshlrev_b64 v[8:9], 3, v[8:9]
	v_add_co_u32_e32 v8, vcc, v2, v8
	v_addc_co_u32_e32 v9, vcc, v3, v9, vcc
	flat_load_dwordx2 v[18:19], v[8:9]
	v_add_u32_e32 v6, 0x100, v6
	s_or_b64 exec, exec, s[6:7]
	v_cmp_lt_i32_e32 vcc, v6, v4
	s_and_saveexec_b64 s[6:7], vcc
	s_cbranch_execnz .LBB0_8
.LBB0_6:
	s_or_b64 exec, exec, s[6:7]
                                        ; implicit-def: $vgpr6_vgpr7_vgpr8_vgpr9_vgpr10_vgpr11_vgpr12_vgpr13
	s_and_saveexec_b64 s[8:9], s[4:5]
	s_cbranch_execnz .LBB0_9
	s_branch .LBB0_26
.LBB0_7:
	s_or_b64 exec, exec, s[6:7]
	v_cmp_lt_i32_e32 vcc, v6, v4
	s_and_saveexec_b64 s[6:7], vcc
	s_cbranch_execz .LBB0_6
.LBB0_8:
	v_add_u32_e32 v6, s26, v6
	v_mov_b32_e32 v7, 0
	v_lshlrev_b64 v[6:7], 3, v[6:7]
	v_add_co_u32_e32 v2, vcc, v2, v6
	v_addc_co_u32_e32 v3, vcc, v3, v7, vcc
	flat_load_dwordx2 v[16:17], v[2:3]
	s_or_b64 exec, exec, s[6:7]
                                        ; implicit-def: $vgpr6_vgpr7_vgpr8_vgpr9_vgpr10_vgpr11_vgpr12_vgpr13
	s_and_saveexec_b64 s[8:9], s[4:5]
	s_cbranch_execz .LBB0_26
.LBB0_9:
	s_waitcnt vmcnt(0) lgkmcnt(0)
	v_xor_b32_e32 v2, 0x80000000, v23
	v_cmp_gt_f64_e32 vcc, 0, v[22:23]
	s_mov_b32 s6, 0
	v_cndmask_b32_e32 v3, v23, v2, vcc
	v_cndmask_b32_e32 v2, v22, v22, vcc
	s_mov_b32 s7, 0x40140000
	v_cmp_ge_f64_e32 vcc, s[6:7], v[2:3]
	v_mul_f64 v[8:9], v[2:3], v[2:3]
                                        ; implicit-def: $vgpr6_vgpr7
	s_and_saveexec_b64 s[6:7], vcc
	s_xor_b64 s[6:7], exec, s[6:7]
	s_cbranch_execz .LBB0_15
; %bb.10:
	s_mov_b32 s10, 0x88e368f1
	s_mov_b32 s11, 0x3ee4f8b5
	v_cmp_ngt_f64_e32 vcc, s[10:11], v[2:3]
                                        ; implicit-def: $vgpr6_vgpr7
	s_and_saveexec_b64 s[10:11], vcc
	s_xor_b64 s[10:11], exec, s[10:11]
	s_cbranch_execz .LBB0_12
; %bb.11:
	v_mov_b32_e32 v2, 0xad1c8325
	v_mov_b32_e32 v3, 0xc1f1dc53
	v_fmac_f64_e32 v[2:3], 0, v[8:9]
	v_mov_b32_e32 v6, 0xc772990d
	v_mov_b32_e32 v7, 0x427c7751
	v_fmac_f64_e32 v[6:7], v[8:9], v[2:3]
	;; [unrolled: 3-line block ×10, first 2 shown]
	v_mov_b32_e32 v10, 0xc7b662cc
	v_mov_b32_e32 v11, 0x43b7be34
	s_mov_b32 s12, 0x80462bbb
	v_fmac_f64_e32 v[10:11], v[8:9], v[6:7]
	v_mov_b32_e32 v6, 0x69ff5fb4
	v_mov_b32_e32 v7, 0x43413ef8
	s_mov_b32 s13, 0xc01721fb
	v_fmac_f64_e32 v[6:7], v[8:9], v[2:3]
	v_add_f64 v[2:3], v[8:9], s[12:13]
	s_mov_b32 s12, 0xa621dd6f
	s_mov_b32 s13, 0xc03e78a4
	v_add_f64 v[8:9], v[8:9], s[12:13]
	v_mul_f64 v[2:3], v[2:3], v[8:9]
	v_mul_f64 v[2:3], v[2:3], v[6:7]
	v_div_scale_f64 v[6:7], s[12:13], v[10:11], v[10:11], v[2:3]
	v_rcp_f64_e32 v[8:9], v[6:7]
	v_fma_f64 v[12:13], -v[6:7], v[8:9], 1.0
	v_fmac_f64_e32 v[8:9], v[8:9], v[12:13]
	v_fma_f64 v[12:13], -v[6:7], v[8:9], 1.0
	v_fmac_f64_e32 v[8:9], v[8:9], v[12:13]
	v_div_scale_f64 v[12:13], vcc, v[2:3], v[10:11], v[2:3]
	v_mul_f64 v[22:23], v[12:13], v[8:9]
	v_fma_f64 v[6:7], -v[6:7], v[22:23], v[12:13]
	s_nop 1
	v_div_fmas_f64 v[6:7], v[6:7], v[8:9], v[22:23]
	v_div_fixup_f64 v[6:7], v[6:7], v[10:11], v[2:3]
                                        ; implicit-def: $vgpr8_vgpr9
.LBB0_12:
	s_andn2_saveexec_b64 s[10:11], s[10:11]
; %bb.13:
	s_mov_b32 s12, 0
	s_mov_b32 s13, 0xbfd00000
	v_fma_f64 v[6:7], v[8:9], s[12:13], 1.0
; %bb.14:
	s_or_b64 exec, exec, s[10:11]
                                        ; implicit-def: $vgpr8_vgpr9
                                        ; implicit-def: $vgpr2_vgpr3
.LBB0_15:
	s_andn2_saveexec_b64 s[10:11], s[6:7]
	s_cbranch_execz .LBB0_25
; %bb.16:
	s_mov_b32 s15, 0xbfe921fb
	s_mov_b32 s14, 0x54442d18
	;; [unrolled: 1-line block ×3, first 2 shown]
	v_add_f64 v[6:7], v[2:3], s[14:15]
	s_mov_b32 s7, 0x41d00000
	v_cmp_nlt_f64_e64 s[12:13], |v[6:7]|, s[6:7]
	v_trig_preop_f64 v[30:31], |v[6:7]|, 0
	v_trig_preop_f64 v[28:29], |v[6:7]|, 1
	;; [unrolled: 1-line block ×3, first 2 shown]
                                        ; implicit-def: $vgpr15
                                        ; implicit-def: $vgpr10_vgpr11
                                        ; implicit-def: $vgpr12_vgpr13
	s_and_saveexec_b64 s[6:7], s[12:13]
	s_xor_b64 s[16:17], exec, s[6:7]
	s_cbranch_execz .LBB0_18
; %bb.17:
	s_mov_b32 s6, 0
	s_mov_b32 s7, 0x7b000000
	s_movk_i32 s15, 0xff80
	v_and_b32_e32 v12, 0x7fffffff, v7
	v_ldexp_f64 v[10:11], |v[6:7]|, s15
	v_cmp_ge_f64_e64 vcc, |v[6:7]|, s[6:7]
	v_cndmask_b32_e32 v11, v12, v11, vcc
	v_cndmask_b32_e32 v10, v6, v10, vcc
	v_mul_f64 v[22:23], v[30:31], v[10:11]
	v_mul_f64 v[12:13], v[28:29], v[10:11]
	v_fma_f64 v[24:25], v[30:31], v[10:11], -v[22:23]
	v_add_f64 v[32:33], v[12:13], v[24:25]
	v_add_f64 v[34:35], v[22:23], v[32:33]
	s_mov_b32 s6, 0
	v_ldexp_f64 v[36:37], v[34:35], -2
	s_mov_b32 s7, 0x7ff00000
	v_fract_f64_e32 v[38:39], v[36:37]
	v_cmp_neq_f64_e64 vcc, |v[36:37]|, s[6:7]
	v_cndmask_b32_e32 v37, 0, v39, vcc
	v_cndmask_b32_e32 v36, 0, v38, vcc
	v_add_f64 v[38:39], v[32:33], -v[12:13]
	v_add_f64 v[24:25], v[24:25], -v[38:39]
	v_add_f64 v[38:39], v[32:33], -v[38:39]
	v_add_f64 v[38:39], v[12:13], -v[38:39]
	v_add_f64 v[24:25], v[24:25], v[38:39]
	v_fma_f64 v[12:13], v[28:29], v[10:11], -v[12:13]
	v_mul_f64 v[38:39], v[26:27], v[10:11]
	v_add_f64 v[50:51], v[38:39], v[12:13]
	v_add_f64 v[52:53], v[50:51], v[24:25]
	v_add_f64 v[22:23], v[34:35], -v[22:23]
	v_add_f64 v[34:35], v[52:53], -v[50:51]
	;; [unrolled: 1-line block ×5, first 2 shown]
	v_add_f64 v[24:25], v[24:25], v[34:35]
	v_add_f64 v[34:35], v[50:51], -v[38:39]
	v_add_f64 v[12:13], v[12:13], -v[34:35]
	;; [unrolled: 1-line block ×5, first 2 shown]
	v_add_f64 v[32:33], v[22:23], v[52:53]
	v_add_f64 v[12:13], v[12:13], v[34:35]
	v_add_f64 v[22:23], v[32:33], -v[22:23]
	v_add_f64 v[12:13], v[12:13], v[24:25]
	v_fma_f64 v[10:11], v[26:27], v[10:11], -v[38:39]
	v_add_f64 v[22:23], v[52:53], -v[22:23]
	v_add_f64 v[10:11], v[10:11], v[12:13]
	v_ldexp_f64 v[12:13], v[36:37], 2
	v_add_f64 v[10:11], v[22:23], v[10:11]
	v_add_f64 v[22:23], v[32:33], v[12:13]
	v_mov_b32_e32 v15, 0x40100000
	v_cmp_gt_f64_e32 vcc, 0, v[22:23]
	v_mov_b32_e32 v48, 0
	v_cndmask_b32_e32 v49, 0, v15, vcc
	v_add_f64 v[12:13], v[12:13], v[48:49]
	v_add_f64 v[22:23], v[32:33], v[12:13]
	v_cvt_i32_f64_e32 v15, v[22:23]
	v_cvt_f64_i32_e32 v[22:23], v15
	v_add_f64 v[12:13], v[12:13], -v[22:23]
	v_add_f64 v[22:23], v[32:33], v[12:13]
	v_add_f64 v[12:13], v[22:23], -v[12:13]
	v_add_f64 v[12:13], v[32:33], -v[12:13]
	v_add_f64 v[10:11], v[10:11], v[12:13]
	v_cmp_le_f64_e32 vcc, 0.5, v[22:23]
	v_mov_b32_e32 v12, 0x3ff00000
	v_cndmask_b32_e32 v49, 0, v12, vcc
	v_add_f64 v[12:13], v[22:23], -v[48:49]
	v_add_f64 v[22:23], v[12:13], v[10:11]
	v_addc_co_u32_e64 v15, s[6:7], 0, v15, vcc
	v_add_f64 v[12:13], v[22:23], -v[12:13]
	s_mov_b32 s15, 0x3ff921fb
	v_add_f64 v[10:11], v[10:11], -v[12:13]
	v_mul_f64 v[12:13], v[22:23], s[14:15]
	s_mov_b32 s6, 0x33145c07
	v_fma_f64 v[24:25], v[22:23], s[14:15], -v[12:13]
	s_mov_b32 s7, 0x3c91a626
	v_fmac_f64_e32 v[24:25], s[6:7], v[22:23]
	v_fmac_f64_e32 v[24:25], s[14:15], v[10:11]
	v_add_f64 v[10:11], v[12:13], v[24:25]
	v_add_f64 v[12:13], v[10:11], -v[12:13]
	v_add_f64 v[12:13], v[24:25], -v[12:13]
	s_andn2_saveexec_b64 s[6:7], s[16:17]
	s_cbranch_execz .LBB0_20
	s_branch .LBB0_19
.LBB0_18:
	s_andn2_saveexec_b64 s[6:7], s[16:17]
	s_cbranch_execz .LBB0_20
.LBB0_19:
	s_mov_b32 s14, 0x6dc9c883
	s_mov_b32 s15, 0x3fe45f30
	v_mul_f64 v[10:11], |v[6:7]|, s[14:15]
	s_mov_b32 s14, 0x54442d18
	v_rndne_f64_e32 v[22:23], v[10:11]
	s_mov_b32 s15, 0xbff921fb
	v_fma_f64 v[10:11], v[22:23], s[14:15], |v[6:7]|
	s_mov_b32 s15, 0xbc91a626
	s_mov_b32 s14, 0x33145c00
	v_mul_f64 v[24:25], v[22:23], s[14:15]
	v_add_f64 v[34:35], v[10:11], v[24:25]
	v_fma_f64 v[12:13], s[14:15], v[22:23], v[10:11]
	s_mov_b32 s15, 0x3c91a626
	v_add_f64 v[10:11], v[10:11], -v[34:35]
	v_fma_f64 v[32:33], s[14:15], v[22:23], v[24:25]
	v_add_f64 v[10:11], v[10:11], v[24:25]
	v_add_f64 v[24:25], v[34:35], -v[12:13]
	v_add_f64 v[10:11], v[24:25], v[10:11]
	s_mov_b32 s14, 0x252049c0
	v_add_f64 v[24:25], v[10:11], -v[32:33]
	s_mov_b32 s15, 0xb97b839a
	v_fmac_f64_e32 v[24:25], s[14:15], v[22:23]
	v_add_f64 v[10:11], v[12:13], v[24:25]
	v_add_f64 v[12:13], v[10:11], -v[12:13]
	v_add_f64 v[12:13], v[24:25], -v[12:13]
	v_cvt_i32_f64_e32 v15, v[22:23]
.LBB0_20:
	s_or_b64 exec, exec, s[6:7]
                                        ; implicit-def: $vgpr32
                                        ; implicit-def: $vgpr22_vgpr23
                                        ; implicit-def: $vgpr24_vgpr25
	s_and_saveexec_b64 s[6:7], s[12:13]
	s_xor_b64 s[12:13], exec, s[6:7]
	s_cbranch_execz .LBB0_22
; %bb.21:
	s_mov_b32 s6, 0
	s_mov_b32 s7, 0x7b000000
	s_movk_i32 s14, 0xff80
	v_and_b32_e32 v24, 0x7fffffff, v7
	v_ldexp_f64 v[22:23], |v[6:7]|, s14
	v_cmp_ge_f64_e64 vcc, |v[6:7]|, s[6:7]
	v_cndmask_b32_e32 v23, v24, v23, vcc
	v_cndmask_b32_e32 v22, v6, v22, vcc
	v_mul_f64 v[32:33], v[30:31], v[22:23]
	v_mul_f64 v[24:25], v[28:29], v[22:23]
	v_fma_f64 v[30:31], v[30:31], v[22:23], -v[32:33]
	v_add_f64 v[34:35], v[24:25], v[30:31]
	v_add_f64 v[36:37], v[32:33], v[34:35]
	s_mov_b32 s6, 0
	v_ldexp_f64 v[38:39], v[36:37], -2
	s_mov_b32 s7, 0x7ff00000
	v_fract_f64_e32 v[48:49], v[38:39]
	v_cmp_neq_f64_e64 vcc, |v[38:39]|, s[6:7]
	v_cndmask_b32_e32 v39, 0, v49, vcc
	v_cndmask_b32_e32 v38, 0, v48, vcc
	v_add_f64 v[48:49], v[34:35], -v[24:25]
	v_add_f64 v[30:31], v[30:31], -v[48:49]
	;; [unrolled: 1-line block ×4, first 2 shown]
	v_fma_f64 v[24:25], v[28:29], v[22:23], -v[24:25]
	v_mul_f64 v[28:29], v[26:27], v[22:23]
	v_add_f64 v[30:31], v[30:31], v[48:49]
	v_add_f64 v[48:49], v[28:29], v[24:25]
	;; [unrolled: 1-line block ×3, first 2 shown]
	v_add_f64 v[32:33], v[36:37], -v[32:33]
	v_add_f64 v[36:37], v[52:53], -v[48:49]
	;; [unrolled: 1-line block ×5, first 2 shown]
	v_add_f64 v[30:31], v[30:31], v[36:37]
	v_add_f64 v[36:37], v[48:49], -v[28:29]
	v_add_f64 v[24:25], v[24:25], -v[36:37]
	;; [unrolled: 1-line block ×4, first 2 shown]
	v_add_f64 v[24:25], v[24:25], v[36:37]
	v_add_f64 v[32:33], v[34:35], -v[32:33]
	v_add_f64 v[24:25], v[24:25], v[30:31]
	v_fma_f64 v[22:23], v[26:27], v[22:23], -v[28:29]
	v_add_f64 v[34:35], v[32:33], v[52:53]
	v_add_f64 v[22:23], v[22:23], v[24:25]
	v_ldexp_f64 v[24:25], v[38:39], 2
	v_add_f64 v[26:27], v[34:35], v[24:25]
	v_mov_b32_e32 v28, 0x40100000
	v_cmp_gt_f64_e32 vcc, 0, v[26:27]
	v_mov_b32_e32 v50, 0
	v_cndmask_b32_e32 v51, 0, v28, vcc
	v_add_f64 v[24:25], v[24:25], v[50:51]
	v_add_f64 v[26:27], v[34:35], v[24:25]
	v_cvt_i32_f64_e32 v28, v[26:27]
	v_cvt_f64_i32_e32 v[26:27], v28
	v_add_f64 v[24:25], v[24:25], -v[26:27]
	v_add_f64 v[32:33], v[34:35], -v[32:33]
	v_add_f64 v[26:27], v[34:35], v[24:25]
	v_add_f64 v[32:33], v[52:53], -v[32:33]
	v_add_f64 v[24:25], v[26:27], -v[24:25]
	v_add_f64 v[22:23], v[32:33], v[22:23]
	v_add_f64 v[24:25], v[34:35], -v[24:25]
	v_add_f64 v[22:23], v[22:23], v[24:25]
	v_cmp_le_f64_e32 vcc, 0.5, v[26:27]
	v_mov_b32_e32 v24, 0x3ff00000
	v_cndmask_b32_e32 v51, 0, v24, vcc
	v_addc_co_u32_e64 v32, s[6:7], 0, v28, vcc
	v_add_f64 v[24:25], v[26:27], -v[50:51]
	v_add_f64 v[26:27], v[24:25], v[22:23]
	s_mov_b32 s6, 0x54442d18
	v_add_f64 v[24:25], v[26:27], -v[24:25]
	s_mov_b32 s7, 0x3ff921fb
	v_add_f64 v[22:23], v[22:23], -v[24:25]
	v_mul_f64 v[24:25], v[26:27], s[6:7]
	s_mov_b32 s14, 0x33145c07
	v_fma_f64 v[28:29], v[26:27], s[6:7], -v[24:25]
	s_mov_b32 s15, 0x3c91a626
	v_fmac_f64_e32 v[28:29], s[14:15], v[26:27]
	v_fmac_f64_e32 v[28:29], s[6:7], v[22:23]
	v_add_f64 v[22:23], v[24:25], v[28:29]
	v_add_f64 v[24:25], v[22:23], -v[24:25]
	v_add_f64 v[24:25], v[28:29], -v[24:25]
	s_andn2_saveexec_b64 s[6:7], s[12:13]
	s_cbranch_execnz .LBB0_23
	s_branch .LBB0_24
.LBB0_22:
	s_andn2_saveexec_b64 s[6:7], s[12:13]
	s_cbranch_execz .LBB0_24
.LBB0_23:
	s_mov_b32 s12, 0x6dc9c883
	s_mov_b32 s13, 0x3fe45f30
	v_mul_f64 v[22:23], |v[6:7]|, s[12:13]
	s_mov_b32 s12, 0x54442d18
	v_rndne_f64_e32 v[26:27], v[22:23]
	s_mov_b32 s13, 0xbff921fb
	v_fma_f64 v[22:23], v[26:27], s[12:13], |v[6:7]|
	s_mov_b32 s13, 0xbc91a626
	s_mov_b32 s12, 0x33145c00
	v_mul_f64 v[28:29], v[26:27], s[12:13]
	v_add_f64 v[32:33], v[22:23], v[28:29]
	v_fma_f64 v[24:25], s[12:13], v[26:27], v[22:23]
	s_mov_b32 s13, 0x3c91a626
	v_add_f64 v[22:23], v[22:23], -v[32:33]
	v_fma_f64 v[30:31], s[12:13], v[26:27], v[28:29]
	v_add_f64 v[22:23], v[22:23], v[28:29]
	v_add_f64 v[28:29], v[32:33], -v[24:25]
	v_add_f64 v[22:23], v[28:29], v[22:23]
	s_mov_b32 s12, 0x252049c0
	v_add_f64 v[28:29], v[22:23], -v[30:31]
	s_mov_b32 s13, 0xb97b839a
	v_fmac_f64_e32 v[28:29], s[12:13], v[26:27]
	v_add_f64 v[22:23], v[24:25], v[28:29]
	v_add_f64 v[24:25], v[22:23], -v[24:25]
	v_add_f64 v[24:25], v[28:29], -v[24:25]
	v_cvt_i32_f64_e32 v32, v[26:27]
.LBB0_24:
	s_or_b64 exec, exec, s[6:7]
	s_mov_b32 s6, 0
	s_mov_b32 s7, 0x40390000
	v_div_scale_f64 v[26:27], s[12:13], v[8:9], v[8:9], s[6:7]
	v_rcp_f64_e32 v[28:29], v[26:27]
	v_mov_b32_e32 v36, 0xb1759c7f
	v_mov_b32_e32 v37, 0x408ac370
	v_mov_b32_e32 v48, 0x6280a54
	v_fma_f64 v[30:31], -v[26:27], v[28:29], 1.0
	v_fmac_f64_e32 v[28:29], v[28:29], v[30:31]
	v_fma_f64 v[30:31], -v[26:27], v[28:29], 1.0
	v_fmac_f64_e32 v[28:29], v[28:29], v[30:31]
	v_div_scale_f64 v[30:31], vcc, s[6:7], v[8:9], s[6:7]
	v_mul_f64 v[34:35], v[30:31], v[28:29]
	v_fma_f64 v[26:27], -v[26:27], v[34:35], v[30:31]
	v_mov_b32_e32 v30, 0xab5454e3
	s_nop 0
	v_div_fmas_f64 v[26:27], v[26:27], v[28:29], v[34:35]
	v_div_fixup_f64 v[8:9], v[26:27], v[8:9], s[6:7]
	v_mov_b32_e32 v26, 0x983b6b27
	v_mov_b32_e32 v27, 0x3f4a1d30
	v_fmac_f64_e32 v[26:27], 0, v[8:9]
	v_mov_b32_e32 v28, 0xb35dd1cf
	v_mov_b32_e32 v29, 0x3fb534b0
	v_fmac_f64_e32 v[28:29], v[8:9], v[26:27]
	v_mov_b32_e32 v26, 0x4e680b98
	v_mov_b32_e32 v27, 0x3ff3d521
	v_fmac_f64_e32 v[26:27], v[8:9], v[28:29]
	v_mov_b32_e32 v28, 0xe97a0956
	v_mov_b32_e32 v29, 0x4015c9fb
	v_fmac_f64_e32 v[28:29], v[8:9], v[26:27]
	v_mov_b32_e32 v26, 0x69409888
	v_mov_b32_e32 v27, 0x40217e8c
	v_fmac_f64_e32 v[26:27], v[8:9], v[28:29]
	v_mov_b32_e32 v28, 0xa59425a1
	v_mov_b32_e32 v29, 0x40153684
	v_fmac_f64_e32 v[28:29], v[8:9], v[26:27]
	v_mov_b32_e32 v26, 0xce039737
	v_mov_b32_e32 v27, 0x3f4e4a80
	v_fmac_f64_e32 v[26:27], 0, v[8:9]
	v_mov_b32_e32 v31, 0x3fb5ebc5
	v_fmac_f64_e32 v[30:31], v[8:9], v[26:27]
	v_mov_b32_e32 v26, 0xc9b3069f
	v_mov_b32_e32 v27, 0x3ff40e72
	v_fmac_f64_e32 v[26:27], v[8:9], v[30:31]
	v_mov_b32_e32 v30, 0xe68162bb
	;; [unrolled: 3-line block ×4, first 2 shown]
	v_mov_b32_e32 v31, 0x40153965
	v_fmac_f64_e32 v[30:31], v[8:9], v[26:27]
	v_fma_f64 v[26:27], v[8:9], v[30:31], 1.0
	v_mov_b32_e32 v30, 0x38a5384a
	v_mov_b32_e32 v31, 0xbf874742
	v_fmac_f64_e32 v[30:31], 0, v[8:9]
	v_mov_b32_e32 v34, 0x3a321174
	v_mov_b32_e32 v35, 0xbff4853b
	v_fmac_f64_e32 v[34:35], v[8:9], v[30:31]
	;; [unrolled: 3-line block ×9, first 2 shown]
	v_fmac_f64_e32 v[36:37], v[8:9], v[30:31]
	v_mov_b32_e32 v30, 0xbd748cb5
	v_mov_b32_e32 v31, 0x40ae54cd
	v_fmac_f64_e32 v[30:31], v[8:9], v[36:37]
	v_mov_b32_e32 v36, 0xbdefd63e
	v_mov_b32_e32 v37, 0x40bc4877
	v_fmac_f64_e32 v[36:37], v[8:9], v[30:31]
	v_mov_b32_e32 v30, 0x1d733b11
	v_mov_b32_e32 v31, 0x40b72aba
	v_fmac_f64_e32 v[30:31], v[8:9], v[36:37]
	v_mov_b32_e32 v36, 0xc7319e82
	v_mov_b32_e32 v37, 0x40a01c2f
	v_fma_f64 v[28:29], v[8:9], v[28:29], 1.0
	v_fmac_f64_e32 v[36:37], v[8:9], v[30:31]
	v_div_scale_f64 v[30:31], s[6:7], v[26:27], v[26:27], v[28:29]
	v_rcp_f64_e32 v[38:39], v[30:31]
	v_mov_b32_e32 v49, 0x406e402f
	v_fmac_f64_e32 v[48:49], v[8:9], v[36:37]
	s_mov_b32 s6, 0x9037ab78
	v_fma_f64 v[8:9], -v[30:31], v[38:39], 1.0
	v_fmac_f64_e32 v[38:39], v[38:39], v[8:9]
	v_fma_f64 v[8:9], -v[30:31], v[38:39], 1.0
	v_fmac_f64_e32 v[38:39], v[38:39], v[8:9]
	v_div_scale_f64 v[8:9], vcc, v[28:29], v[26:27], v[28:29]
	v_mul_f64 v[36:37], v[8:9], v[38:39]
	v_fma_f64 v[8:9], -v[30:31], v[36:37], v[8:9]
	s_mov_b32 s7, 0x3e21eeb6
	s_nop 0
	v_div_fmas_f64 v[8:9], v[8:9], v[38:39], v[36:37]
	s_mov_b32 s12, 0x46cc5e42
	v_div_fixup_f64 v[8:9], v[8:9], v[26:27], v[28:29]
	v_mul_f64 v[26:27], v[10:11], v[10:11]
	s_mov_b32 s13, 0xbda907db
	v_pk_mov_b32 v[38:39], s[6:7], s[6:7] op_sel:[0,1]
	s_mov_b32 s14, 0xa17f65f6
	v_mul_f64 v[28:29], v[26:27], 0.5
	v_fma_f64 v[50:51], s[12:13], v[26:27], v[38:39]
	s_mov_b32 s15, 0xbe927e4f
	s_mov_b32 s16, 0x19f4ec90
	v_add_f64 v[30:31], -v[28:29], 1.0
	v_fma_f64 v[50:51], v[26:27], v[50:51], s[14:15]
	s_mov_b32 s17, 0x3efa01a0
	s_mov_b32 s18, 0x16c16967
	v_add_f64 v[36:37], -v[30:31], 1.0
	v_fma_f64 v[50:51], v[26:27], v[50:51], s[16:17]
	s_mov_b32 s19, 0xbf56c16c
	s_mov_b32 s20, 0x55555555
	v_add_f64 v[28:29], v[36:37], -v[28:29]
	v_fma_f64 v[50:51], v[26:27], v[50:51], s[18:19]
	s_mov_b32 s21, 0x3fa55555
	v_mul_f64 v[36:37], v[26:27], v[26:27]
	v_fma_f64 v[50:51], v[26:27], v[50:51], s[20:21]
	v_fma_f64 v[28:29], v[10:11], -v[12:13], v[28:29]
	s_mov_b32 s6, 0xb42fdfa7
	v_fmac_f64_e32 v[28:29], v[36:37], v[50:51]
	s_mov_b32 s7, 0xbe5ae600
	s_mov_b32 s22, 0xf9a43bb8
	v_add_f64 v[28:29], v[30:31], v[28:29]
	s_mov_b32 s23, 0x3de5e0b2
	v_pk_mov_b32 v[30:31], s[6:7], s[6:7] op_sel:[0,1]
	s_mov_b32 s24, 0x796cde01
	v_fma_f64 v[36:37], s[22:23], v[26:27], v[30:31]
	s_mov_b32 s25, 0x3ec71de3
	s_mov_b32 s28, 0x19e83e5c
	v_fma_f64 v[36:37], v[26:27], v[36:37], s[24:25]
	s_mov_b32 s29, 0xbf2a01a0
	;; [unrolled: 3-line block ×3, first 2 shown]
	v_fma_f64 v[36:37], v[26:27], v[36:37], s[30:31]
	v_mul_f64 v[50:51], v[10:11], -v[26:27]
	v_mul_f64 v[52:53], v[12:13], 0.5
	v_fmac_f64_e32 v[52:53], v[50:51], v[36:37]
	v_fma_f64 v[12:13], v[26:27], v[52:53], -v[12:13]
	s_mov_b32 s35, 0xbfc55555
	s_mov_b32 s34, s20
	v_fmac_f64_e32 v[12:13], s[34:35], v[50:51]
	v_add_f64 v[10:11], v[10:11], -v[12:13]
	v_and_b32_e32 v12, 1, v15
	v_xor_b32_e32 v11, 0x80000000, v11
	v_cmp_eq_u32_e32 vcc, 0, v12
	v_cndmask_b32_e32 v26, v10, v28, vcc
	v_cndmask_b32_e32 v10, v11, v29, vcc
	v_lshlrev_b32_e32 v11, 30, v15
	s_mov_b32 s36, 0
	v_and_b32_e32 v11, 0x80000000, v11
	s_mov_b32 s37, 0xc0140000
	v_xor_b32_e32 v15, v10, v11
	v_div_scale_f64 v[10:11], s[6:7], v[2:3], v[2:3], s[36:37]
	v_rcp_f64_e32 v[12:13], v[10:11]
	s_movk_i32 s27, 0x1f8
	v_cmp_class_f64_e64 s[6:7], v[6:7], s27
	v_and_b32_e32 v6, 1, v32
	v_fma_f64 v[28:29], -v[10:11], v[12:13], 1.0
	v_fmac_f64_e32 v[12:13], v[12:13], v[28:29]
	v_fma_f64 v[28:29], -v[10:11], v[12:13], 1.0
	v_fmac_f64_e32 v[12:13], v[12:13], v[28:29]
	v_div_scale_f64 v[28:29], vcc, s[36:37], v[2:3], s[36:37]
	v_mul_f64 v[36:37], v[28:29], v[12:13]
	v_fma_f64 v[10:11], -v[10:11], v[36:37], v[28:29]
	v_div_scale_f64 v[28:29], s[38:39], v[48:49], v[48:49], v[34:35]
	v_rcp_f64_e32 v[50:51], v[28:29]
	v_div_fmas_f64 v[10:11], v[10:11], v[12:13], v[36:37]
	v_div_fixup_f64 v[10:11], v[10:11], v[2:3], s[36:37]
	v_mov_b32_e32 v33, 0x7ff80000
	v_fma_f64 v[12:13], -v[28:29], v[50:51], 1.0
	v_fmac_f64_e32 v[50:51], v[50:51], v[12:13]
	v_fma_f64 v[12:13], -v[28:29], v[50:51], 1.0
	v_fmac_f64_e32 v[50:51], v[50:51], v[12:13]
	v_div_scale_f64 v[12:13], vcc, v[34:35], v[48:49], v[34:35]
	v_mul_f64 v[36:37], v[12:13], v[50:51]
	v_fma_f64 v[12:13], -v[28:29], v[36:37], v[12:13]
	v_cndmask_b32_e64 v26, 0, v26, s[6:7]
	s_nop 0
	v_div_fmas_f64 v[12:13], v[12:13], v[50:51], v[36:37]
	v_div_fixup_f64 v[12:13], v[12:13], v[48:49], v[34:35]
	v_mul_f64 v[10:11], v[10:11], v[12:13]
	v_mul_f64 v[12:13], v[22:23], v[22:23]
	v_mul_f64 v[28:29], v[12:13], 0.5
	v_fmac_f64_e32 v[38:39], s[12:13], v[12:13]
	v_add_f64 v[34:35], -v[28:29], 1.0
	v_fma_f64 v[38:39], v[12:13], v[38:39], s[14:15]
	v_add_f64 v[36:37], -v[34:35], 1.0
	v_fma_f64 v[38:39], v[12:13], v[38:39], s[16:17]
	v_add_f64 v[28:29], v[36:37], -v[28:29]
	v_fma_f64 v[38:39], v[12:13], v[38:39], s[18:19]
	v_fmac_f64_e32 v[30:31], s[22:23], v[12:13]
	v_mul_f64 v[36:37], v[12:13], v[12:13]
	v_fma_f64 v[38:39], v[12:13], v[38:39], s[20:21]
	v_fma_f64 v[28:29], v[22:23], -v[24:25], v[28:29]
	v_fma_f64 v[30:31], v[12:13], v[30:31], s[24:25]
	v_fmac_f64_e32 v[28:29], v[36:37], v[38:39]
	v_fma_f64 v[30:31], v[12:13], v[30:31], s[28:29]
	v_add_f64 v[28:29], v[34:35], v[28:29]
	v_fma_f64 v[30:31], v[12:13], v[30:31], s[30:31]
	v_mul_f64 v[34:35], v[22:23], -v[12:13]
	v_mul_f64 v[36:37], v[24:25], 0.5
	v_fmac_f64_e32 v[36:37], v[34:35], v[30:31]
	v_fma_f64 v[12:13], v[12:13], v[36:37], -v[24:25]
	v_fmac_f64_e32 v[12:13], s[34:35], v[34:35]
	v_add_f64 v[12:13], v[22:23], -v[12:13]
	v_cmp_eq_u32_e32 vcc, 0, v6
	v_cndmask_b32_e32 v6, v28, v12, vcc
	v_cndmask_b32_e32 v12, v29, v13, vcc
	v_lshlrev_b32_e32 v13, 30, v32
	v_xor_b32_e32 v7, v13, v7
	v_and_b32_e32 v7, 0x80000000, v7
	v_xor_b32_e32 v7, v12, v7
	v_cndmask_b32_e64 v27, v33, v15, s[6:7]
	v_cndmask_b32_e64 v6, 0, v6, s[6:7]
	;; [unrolled: 1-line block ×3, first 2 shown]
	s_mov_b32 s6, 0
	s_brev_b32 s7, 8
	v_mul_f64 v[6:7], v[10:11], v[6:7]
	v_cmp_gt_f64_e32 vcc, s[6:7], v[2:3]
	v_fmac_f64_e32 v[6:7], v[8:9], v[26:27]
	v_cndmask_b32_e64 v8, 0, 1, vcc
	v_lshlrev_b32_e32 v8, 8, v8
	v_ldexp_f64 v[2:3], v[2:3], v8
	v_rsq_f64_e32 v[8:9], v[2:3]
	s_mov_b32 s6, 0x33d43651
	s_mov_b32 s7, 0x3fe98845
	v_mul_f64 v[6:7], v[6:7], s[6:7]
	v_mul_f64 v[10:11], v[2:3], v[8:9]
	v_mul_f64 v[8:9], v[8:9], 0.5
	v_fma_f64 v[12:13], -v[8:9], v[10:11], 0.5
	v_fmac_f64_e32 v[10:11], v[10:11], v[12:13]
	v_fma_f64 v[22:23], -v[10:11], v[10:11], v[2:3]
	v_fmac_f64_e32 v[8:9], v[8:9], v[12:13]
	v_fmac_f64_e32 v[10:11], v[22:23], v[8:9]
	v_fma_f64 v[12:13], -v[10:11], v[10:11], v[2:3]
	v_fmac_f64_e32 v[10:11], v[12:13], v[8:9]
	v_mov_b32_e32 v8, 0xffffff80
	v_cndmask_b32_e32 v8, 0, v8, vcc
	v_ldexp_f64 v[8:9], v[10:11], v8
	v_mov_b32_e32 v10, 0x260
	v_cmp_class_f64_e32 vcc, v[2:3], v10
	v_cndmask_b32_e32 v3, v9, v3, vcc
	v_cndmask_b32_e32 v2, v8, v2, vcc
	v_div_scale_f64 v[8:9], s[6:7], v[2:3], v[2:3], v[6:7]
	v_rcp_f64_e32 v[10:11], v[8:9]
	v_fma_f64 v[12:13], -v[8:9], v[10:11], 1.0
	v_fmac_f64_e32 v[10:11], v[10:11], v[12:13]
	v_fma_f64 v[12:13], -v[8:9], v[10:11], 1.0
	v_fmac_f64_e32 v[10:11], v[10:11], v[12:13]
	v_div_scale_f64 v[12:13], vcc, v[6:7], v[2:3], v[6:7]
	v_mul_f64 v[22:23], v[12:13], v[10:11]
	v_fma_f64 v[8:9], -v[8:9], v[22:23], v[12:13]
	s_nop 1
	v_div_fmas_f64 v[8:9], v[8:9], v[10:11], v[22:23]
	v_div_fixup_f64 v[6:7], v[8:9], v[2:3], v[6:7]
.LBB0_25:
	s_or_b64 exec, exec, s[10:11]
.LBB0_26:
	s_or_b64 exec, exec, s[8:9]
	v_add_u32_e32 v36, 0x100, v5
	v_cmp_lt_i32_e32 vcc, v36, v4
	s_and_saveexec_b64 s[8:9], vcc
	s_cbranch_execz .LBB0_44
; %bb.27:
	s_waitcnt vmcnt(0) lgkmcnt(0)
	v_xor_b32_e32 v2, 0x80000000, v21
	v_cmp_gt_f64_e32 vcc, 0, v[20:21]
	s_mov_b32 s6, 0
	v_cndmask_b32_e32 v3, v21, v2, vcc
	v_cndmask_b32_e32 v2, v20, v20, vcc
	s_mov_b32 s7, 0x40140000
	v_cmp_ge_f64_e32 vcc, s[6:7], v[2:3]
	v_mul_f64 v[20:21], v[2:3], v[2:3]
	s_and_saveexec_b64 s[6:7], vcc
	s_xor_b64 s[6:7], exec, s[6:7]
	s_cbranch_execz .LBB0_33
; %bb.28:
	s_mov_b32 s10, 0x88e368f1
	s_mov_b32 s11, 0x3ee4f8b5
	v_cmp_ngt_f64_e32 vcc, s[10:11], v[2:3]
	s_and_saveexec_b64 s[10:11], vcc
	s_xor_b64 s[10:11], exec, s[10:11]
	s_cbranch_execz .LBB0_30
; %bb.29:
	v_mov_b32_e32 v2, 0xad1c8325
	v_mov_b32_e32 v3, 0xc1f1dc53
	v_fmac_f64_e32 v[2:3], 0, v[20:21]
	v_mov_b32_e32 v8, 0xc772990d
	v_mov_b32_e32 v9, 0x427c7751
	v_fmac_f64_e32 v[8:9], v[20:21], v[2:3]
	;; [unrolled: 3-line block ×10, first 2 shown]
	v_mov_b32_e32 v22, 0xc7b662cc
	v_mov_b32_e32 v23, 0x43b7be34
	s_mov_b32 s12, 0x80462bbb
	v_fmac_f64_e32 v[22:23], v[20:21], v[8:9]
	v_mov_b32_e32 v8, 0x69ff5fb4
	v_mov_b32_e32 v9, 0x43413ef8
	s_mov_b32 s13, 0xc01721fb
	v_fmac_f64_e32 v[8:9], v[20:21], v[2:3]
	v_add_f64 v[2:3], v[20:21], s[12:13]
	s_mov_b32 s12, 0xa621dd6f
	s_mov_b32 s13, 0xc03e78a4
	v_add_f64 v[20:21], v[20:21], s[12:13]
	v_mul_f64 v[2:3], v[2:3], v[20:21]
	v_mul_f64 v[2:3], v[2:3], v[8:9]
	v_div_scale_f64 v[8:9], s[12:13], v[22:23], v[22:23], v[2:3]
	v_rcp_f64_e32 v[20:21], v[8:9]
	v_fma_f64 v[24:25], -v[8:9], v[20:21], 1.0
	v_fmac_f64_e32 v[20:21], v[20:21], v[24:25]
	v_fma_f64 v[24:25], -v[8:9], v[20:21], 1.0
	v_fmac_f64_e32 v[20:21], v[20:21], v[24:25]
	v_div_scale_f64 v[24:25], vcc, v[2:3], v[22:23], v[2:3]
	v_mul_f64 v[26:27], v[24:25], v[20:21]
	v_fma_f64 v[8:9], -v[8:9], v[26:27], v[24:25]
	s_nop 1
	v_div_fmas_f64 v[8:9], v[8:9], v[20:21], v[26:27]
	v_div_fixup_f64 v[8:9], v[8:9], v[22:23], v[2:3]
                                        ; implicit-def: $vgpr20_vgpr21
.LBB0_30:
	s_andn2_saveexec_b64 s[10:11], s[10:11]
; %bb.31:
	s_mov_b32 s12, 0
	s_mov_b32 s13, 0xbfd00000
	v_fma_f64 v[8:9], v[20:21], s[12:13], 1.0
; %bb.32:
	s_or_b64 exec, exec, s[10:11]
                                        ; implicit-def: $vgpr20_vgpr21
                                        ; implicit-def: $vgpr2_vgpr3
.LBB0_33:
	s_andn2_saveexec_b64 s[10:11], s[6:7]
	s_cbranch_execz .LBB0_43
; %bb.34:
	s_mov_b32 s15, 0xbfe921fb
	s_mov_b32 s14, 0x54442d18
	s_mov_b32 s6, 0
	v_add_f64 v[8:9], v[2:3], s[14:15]
	s_mov_b32 s7, 0x41d00000
	v_cmp_nlt_f64_e64 s[12:13], |v[8:9]|, s[6:7]
	v_trig_preop_f64 v[34:35], |v[8:9]|, 0
	v_trig_preop_f64 v[32:33], |v[8:9]|, 1
	;; [unrolled: 1-line block ×3, first 2 shown]
                                        ; implicit-def: $vgpr15
                                        ; implicit-def: $vgpr22_vgpr23
                                        ; implicit-def: $vgpr24_vgpr25
	s_and_saveexec_b64 s[6:7], s[12:13]
	s_xor_b64 s[16:17], exec, s[6:7]
	s_cbranch_execz .LBB0_36
; %bb.35:
	s_mov_b32 s6, 0
	s_mov_b32 s7, 0x7b000000
	s_movk_i32 s15, 0xff80
	v_and_b32_e32 v15, 0x7fffffff, v9
	v_ldexp_f64 v[22:23], |v[8:9]|, s15
	v_cmp_ge_f64_e64 vcc, |v[8:9]|, s[6:7]
	v_cndmask_b32_e32 v23, v15, v23, vcc
	v_cndmask_b32_e32 v22, v8, v22, vcc
	v_mul_f64 v[26:27], v[34:35], v[22:23]
	v_mul_f64 v[24:25], v[32:33], v[22:23]
	v_fma_f64 v[28:29], v[34:35], v[22:23], -v[26:27]
	v_add_f64 v[38:39], v[24:25], v[28:29]
	v_add_f64 v[48:49], v[26:27], v[38:39]
	s_mov_b32 s6, 0
	v_ldexp_f64 v[50:51], v[48:49], -2
	s_mov_b32 s7, 0x7ff00000
	v_fract_f64_e32 v[52:53], v[50:51]
	v_cmp_neq_f64_e64 vcc, |v[50:51]|, s[6:7]
	v_cndmask_b32_e32 v51, 0, v53, vcc
	v_cndmask_b32_e32 v50, 0, v52, vcc
	v_add_f64 v[52:53], v[38:39], -v[24:25]
	v_add_f64 v[28:29], v[28:29], -v[52:53]
	;; [unrolled: 1-line block ×4, first 2 shown]
	v_add_f64 v[28:29], v[28:29], v[52:53]
	v_fma_f64 v[24:25], v[32:33], v[22:23], -v[24:25]
	v_mul_f64 v[52:53], v[30:31], v[22:23]
	v_add_f64 v[64:65], v[52:53], v[24:25]
	v_add_f64 v[66:67], v[64:65], v[28:29]
	v_add_f64 v[26:27], v[48:49], -v[26:27]
	v_add_f64 v[48:49], v[66:67], -v[64:65]
	v_add_f64 v[28:29], v[28:29], -v[48:49]
	v_add_f64 v[48:49], v[66:67], -v[48:49]
	v_add_f64 v[48:49], v[64:65], -v[48:49]
	v_add_f64 v[28:29], v[28:29], v[48:49]
	v_add_f64 v[48:49], v[64:65], -v[52:53]
	v_add_f64 v[24:25], v[24:25], -v[48:49]
	;; [unrolled: 1-line block ×5, first 2 shown]
	v_add_f64 v[38:39], v[26:27], v[66:67]
	v_add_f64 v[24:25], v[24:25], v[48:49]
	v_add_f64 v[26:27], v[38:39], -v[26:27]
	v_add_f64 v[24:25], v[24:25], v[28:29]
	v_fma_f64 v[22:23], v[30:31], v[22:23], -v[52:53]
	v_add_f64 v[26:27], v[66:67], -v[26:27]
	v_add_f64 v[22:23], v[22:23], v[24:25]
	v_ldexp_f64 v[24:25], v[50:51], 2
	v_add_f64 v[22:23], v[26:27], v[22:23]
	v_add_f64 v[26:27], v[38:39], v[24:25]
	v_mov_b32_e32 v15, 0x40100000
	v_cmp_gt_f64_e32 vcc, 0, v[26:27]
	v_mov_b32_e32 v54, 0
	v_cndmask_b32_e32 v55, 0, v15, vcc
	v_add_f64 v[24:25], v[24:25], v[54:55]
	v_add_f64 v[26:27], v[38:39], v[24:25]
	v_cvt_i32_f64_e32 v15, v[26:27]
	v_cvt_f64_i32_e32 v[26:27], v15
	v_add_f64 v[24:25], v[24:25], -v[26:27]
	v_add_f64 v[26:27], v[38:39], v[24:25]
	v_add_f64 v[24:25], v[26:27], -v[24:25]
	v_add_f64 v[24:25], v[38:39], -v[24:25]
	v_add_f64 v[22:23], v[22:23], v[24:25]
	v_cmp_le_f64_e32 vcc, 0.5, v[26:27]
	v_mov_b32_e32 v24, 0x3ff00000
	v_cndmask_b32_e32 v55, 0, v24, vcc
	v_add_f64 v[24:25], v[26:27], -v[54:55]
	v_add_f64 v[26:27], v[24:25], v[22:23]
	v_addc_co_u32_e64 v15, s[6:7], 0, v15, vcc
	v_add_f64 v[24:25], v[26:27], -v[24:25]
	s_mov_b32 s15, 0x3ff921fb
	v_add_f64 v[22:23], v[22:23], -v[24:25]
	v_mul_f64 v[24:25], v[26:27], s[14:15]
	s_mov_b32 s6, 0x33145c07
	v_fma_f64 v[28:29], v[26:27], s[14:15], -v[24:25]
	s_mov_b32 s7, 0x3c91a626
	v_fmac_f64_e32 v[28:29], s[6:7], v[26:27]
	v_fmac_f64_e32 v[28:29], s[14:15], v[22:23]
	v_add_f64 v[22:23], v[24:25], v[28:29]
	v_add_f64 v[24:25], v[22:23], -v[24:25]
	v_add_f64 v[24:25], v[28:29], -v[24:25]
	s_andn2_saveexec_b64 s[6:7], s[16:17]
	s_cbranch_execz .LBB0_38
	s_branch .LBB0_37
.LBB0_36:
	s_andn2_saveexec_b64 s[6:7], s[16:17]
	s_cbranch_execz .LBB0_38
.LBB0_37:
	s_mov_b32 s14, 0x6dc9c883
	s_mov_b32 s15, 0x3fe45f30
	v_mul_f64 v[22:23], |v[8:9]|, s[14:15]
	s_mov_b32 s14, 0x54442d18
	v_rndne_f64_e32 v[26:27], v[22:23]
	s_mov_b32 s15, 0xbff921fb
	v_fma_f64 v[22:23], v[26:27], s[14:15], |v[8:9]|
	s_mov_b32 s15, 0xbc91a626
	s_mov_b32 s14, 0x33145c00
	v_mul_f64 v[28:29], v[26:27], s[14:15]
	v_add_f64 v[48:49], v[22:23], v[28:29]
	v_fma_f64 v[24:25], s[14:15], v[26:27], v[22:23]
	s_mov_b32 s15, 0x3c91a626
	v_add_f64 v[22:23], v[22:23], -v[48:49]
	v_fma_f64 v[38:39], s[14:15], v[26:27], v[28:29]
	v_add_f64 v[22:23], v[22:23], v[28:29]
	v_add_f64 v[28:29], v[48:49], -v[24:25]
	v_add_f64 v[22:23], v[28:29], v[22:23]
	s_mov_b32 s14, 0x252049c0
	v_add_f64 v[28:29], v[22:23], -v[38:39]
	s_mov_b32 s15, 0xb97b839a
	v_fmac_f64_e32 v[28:29], s[14:15], v[26:27]
	v_add_f64 v[22:23], v[24:25], v[28:29]
	v_add_f64 v[24:25], v[22:23], -v[24:25]
	v_add_f64 v[24:25], v[28:29], -v[24:25]
	v_cvt_i32_f64_e32 v15, v[26:27]
.LBB0_38:
	s_or_b64 exec, exec, s[6:7]
                                        ; implicit-def: $vgpr37
                                        ; implicit-def: $vgpr26_vgpr27
                                        ; implicit-def: $vgpr28_vgpr29
	s_and_saveexec_b64 s[6:7], s[12:13]
	s_xor_b64 s[12:13], exec, s[6:7]
	s_cbranch_execz .LBB0_40
; %bb.39:
	s_mov_b32 s6, 0
	s_mov_b32 s7, 0x7b000000
	s_movk_i32 s14, 0xff80
	v_and_b32_e32 v28, 0x7fffffff, v9
	v_ldexp_f64 v[26:27], |v[8:9]|, s14
	v_cmp_ge_f64_e64 vcc, |v[8:9]|, s[6:7]
	v_cndmask_b32_e32 v27, v28, v27, vcc
	v_cndmask_b32_e32 v26, v8, v26, vcc
	v_mul_f64 v[38:39], v[34:35], v[26:27]
	v_mul_f64 v[28:29], v[32:33], v[26:27]
	v_fma_f64 v[34:35], v[34:35], v[26:27], -v[38:39]
	v_add_f64 v[48:49], v[28:29], v[34:35]
	v_add_f64 v[50:51], v[38:39], v[48:49]
	s_mov_b32 s6, 0
	v_ldexp_f64 v[52:53], v[50:51], -2
	s_mov_b32 s7, 0x7ff00000
	v_fract_f64_e32 v[54:55], v[52:53]
	v_cmp_neq_f64_e64 vcc, |v[52:53]|, s[6:7]
	v_cndmask_b32_e32 v53, 0, v55, vcc
	v_cndmask_b32_e32 v52, 0, v54, vcc
	v_add_f64 v[54:55], v[48:49], -v[28:29]
	v_add_f64 v[34:35], v[34:35], -v[54:55]
	v_add_f64 v[54:55], v[48:49], -v[54:55]
	v_add_f64 v[54:55], v[28:29], -v[54:55]
	v_fma_f64 v[28:29], v[32:33], v[26:27], -v[28:29]
	v_mul_f64 v[32:33], v[30:31], v[26:27]
	v_add_f64 v[34:35], v[34:35], v[54:55]
	v_add_f64 v[54:55], v[32:33], v[28:29]
	;; [unrolled: 1-line block ×3, first 2 shown]
	v_add_f64 v[38:39], v[50:51], -v[38:39]
	v_add_f64 v[50:51], v[66:67], -v[54:55]
	v_add_f64 v[34:35], v[34:35], -v[50:51]
	v_add_f64 v[50:51], v[66:67], -v[50:51]
	v_add_f64 v[50:51], v[54:55], -v[50:51]
	v_add_f64 v[34:35], v[34:35], v[50:51]
	v_add_f64 v[50:51], v[54:55], -v[32:33]
	v_add_f64 v[28:29], v[28:29], -v[50:51]
	;; [unrolled: 1-line block ×4, first 2 shown]
	v_add_f64 v[28:29], v[28:29], v[50:51]
	v_add_f64 v[38:39], v[48:49], -v[38:39]
	v_add_f64 v[28:29], v[28:29], v[34:35]
	v_fma_f64 v[26:27], v[30:31], v[26:27], -v[32:33]
	v_add_f64 v[48:49], v[38:39], v[66:67]
	v_add_f64 v[26:27], v[26:27], v[28:29]
	v_ldexp_f64 v[28:29], v[52:53], 2
	v_add_f64 v[30:31], v[48:49], v[28:29]
	v_mov_b32_e32 v32, 0x40100000
	v_cmp_gt_f64_e32 vcc, 0, v[30:31]
	v_mov_b32_e32 v64, 0
	v_cndmask_b32_e32 v65, 0, v32, vcc
	v_add_f64 v[28:29], v[28:29], v[64:65]
	v_add_f64 v[30:31], v[48:49], v[28:29]
	v_cvt_i32_f64_e32 v32, v[30:31]
	v_cvt_f64_i32_e32 v[30:31], v32
	v_add_f64 v[28:29], v[28:29], -v[30:31]
	v_add_f64 v[38:39], v[48:49], -v[38:39]
	v_add_f64 v[30:31], v[48:49], v[28:29]
	v_add_f64 v[38:39], v[66:67], -v[38:39]
	v_add_f64 v[28:29], v[30:31], -v[28:29]
	v_add_f64 v[26:27], v[38:39], v[26:27]
	v_add_f64 v[28:29], v[48:49], -v[28:29]
	v_add_f64 v[26:27], v[26:27], v[28:29]
	v_cmp_le_f64_e32 vcc, 0.5, v[30:31]
	v_mov_b32_e32 v28, 0x3ff00000
	v_cndmask_b32_e32 v65, 0, v28, vcc
	v_addc_co_u32_e64 v37, s[6:7], 0, v32, vcc
	v_add_f64 v[28:29], v[30:31], -v[64:65]
	v_add_f64 v[30:31], v[28:29], v[26:27]
	s_mov_b32 s6, 0x54442d18
	v_add_f64 v[28:29], v[30:31], -v[28:29]
	s_mov_b32 s7, 0x3ff921fb
	v_add_f64 v[26:27], v[26:27], -v[28:29]
	v_mul_f64 v[28:29], v[30:31], s[6:7]
	s_mov_b32 s14, 0x33145c07
	v_fma_f64 v[32:33], v[30:31], s[6:7], -v[28:29]
	s_mov_b32 s15, 0x3c91a626
	v_fmac_f64_e32 v[32:33], s[14:15], v[30:31]
	v_fmac_f64_e32 v[32:33], s[6:7], v[26:27]
	v_add_f64 v[26:27], v[28:29], v[32:33]
	v_add_f64 v[28:29], v[26:27], -v[28:29]
	v_add_f64 v[28:29], v[32:33], -v[28:29]
	s_andn2_saveexec_b64 s[6:7], s[12:13]
	s_cbranch_execnz .LBB0_41
	s_branch .LBB0_42
.LBB0_40:
	s_andn2_saveexec_b64 s[6:7], s[12:13]
	s_cbranch_execz .LBB0_42
.LBB0_41:
	s_mov_b32 s12, 0x6dc9c883
	s_mov_b32 s13, 0x3fe45f30
	v_mul_f64 v[26:27], |v[8:9]|, s[12:13]
	s_mov_b32 s12, 0x54442d18
	v_rndne_f64_e32 v[30:31], v[26:27]
	s_mov_b32 s13, 0xbff921fb
	v_fma_f64 v[26:27], v[30:31], s[12:13], |v[8:9]|
	s_mov_b32 s13, 0xbc91a626
	s_mov_b32 s12, 0x33145c00
	v_mul_f64 v[32:33], v[30:31], s[12:13]
	v_add_f64 v[38:39], v[26:27], v[32:33]
	v_fma_f64 v[28:29], s[12:13], v[30:31], v[26:27]
	s_mov_b32 s13, 0x3c91a626
	v_add_f64 v[26:27], v[26:27], -v[38:39]
	v_fma_f64 v[34:35], s[12:13], v[30:31], v[32:33]
	v_add_f64 v[26:27], v[26:27], v[32:33]
	v_add_f64 v[32:33], v[38:39], -v[28:29]
	v_add_f64 v[26:27], v[32:33], v[26:27]
	s_mov_b32 s12, 0x252049c0
	v_add_f64 v[32:33], v[26:27], -v[34:35]
	s_mov_b32 s13, 0xb97b839a
	v_fmac_f64_e32 v[32:33], s[12:13], v[30:31]
	v_add_f64 v[26:27], v[28:29], v[32:33]
	v_add_f64 v[28:29], v[26:27], -v[28:29]
	v_add_f64 v[28:29], v[32:33], -v[28:29]
	v_cvt_i32_f64_e32 v37, v[30:31]
.LBB0_42:
	s_or_b64 exec, exec, s[6:7]
	s_mov_b32 s6, 0
	s_mov_b32 s7, 0x40390000
	v_div_scale_f64 v[30:31], s[12:13], v[20:21], v[20:21], s[6:7]
	v_rcp_f64_e32 v[32:33], v[30:31]
	v_mov_b32_e32 v48, 0xb1759c7f
	v_mov_b32_e32 v49, 0x408ac370
	;; [unrolled: 1-line block ×3, first 2 shown]
	v_fma_f64 v[34:35], -v[30:31], v[32:33], 1.0
	v_fmac_f64_e32 v[32:33], v[32:33], v[34:35]
	v_fma_f64 v[34:35], -v[30:31], v[32:33], 1.0
	v_fmac_f64_e32 v[32:33], v[32:33], v[34:35]
	v_div_scale_f64 v[34:35], vcc, s[6:7], v[20:21], s[6:7]
	v_mul_f64 v[38:39], v[34:35], v[32:33]
	v_fma_f64 v[30:31], -v[30:31], v[38:39], v[34:35]
	v_mov_b32_e32 v34, 0xab5454e3
	s_nop 0
	v_div_fmas_f64 v[30:31], v[30:31], v[32:33], v[38:39]
	v_div_fixup_f64 v[20:21], v[30:31], v[20:21], s[6:7]
	v_mov_b32_e32 v30, 0x983b6b27
	v_mov_b32_e32 v31, 0x3f4a1d30
	v_fmac_f64_e32 v[30:31], 0, v[20:21]
	v_mov_b32_e32 v32, 0xb35dd1cf
	v_mov_b32_e32 v33, 0x3fb534b0
	v_fmac_f64_e32 v[32:33], v[20:21], v[30:31]
	;; [unrolled: 3-line block ×7, first 2 shown]
	v_mov_b32_e32 v35, 0x3fb5ebc5
	v_fmac_f64_e32 v[34:35], v[20:21], v[30:31]
	v_mov_b32_e32 v30, 0xc9b3069f
	v_mov_b32_e32 v31, 0x3ff40e72
	v_fmac_f64_e32 v[30:31], v[20:21], v[34:35]
	v_mov_b32_e32 v34, 0xe68162bb
	v_mov_b32_e32 v35, 0x4015e247
	v_fmac_f64_e32 v[34:35], v[20:21], v[30:31]
	v_mov_b32_e32 v30, 0xea1b21a1
	v_mov_b32_e32 v31, 0x40218618
	v_fmac_f64_e32 v[30:31], v[20:21], v[34:35]
	v_mov_b32_e32 v34, 0xed423a19
	v_mov_b32_e32 v35, 0x40153965
	v_fmac_f64_e32 v[34:35], v[20:21], v[30:31]
	v_fma_f64 v[30:31], v[20:21], v[34:35], 1.0
	v_mov_b32_e32 v34, 0x38a5384a
	v_mov_b32_e32 v35, 0xbf874742
	v_fmac_f64_e32 v[34:35], 0, v[20:21]
	v_mov_b32_e32 v38, 0x3a321174
	v_mov_b32_e32 v39, 0xbff4853b
	v_fmac_f64_e32 v[38:39], v[20:21], v[34:35]
	;; [unrolled: 3-line block ×9, first 2 shown]
	v_fmac_f64_e32 v[48:49], v[20:21], v[34:35]
	v_mov_b32_e32 v34, 0xbd748cb5
	v_mov_b32_e32 v35, 0x40ae54cd
	v_fmac_f64_e32 v[34:35], v[20:21], v[48:49]
	v_mov_b32_e32 v48, 0xbdefd63e
	v_mov_b32_e32 v49, 0x40bc4877
	;; [unrolled: 3-line block ×4, first 2 shown]
	v_fma_f64 v[32:33], v[20:21], v[32:33], 1.0
	v_fmac_f64_e32 v[48:49], v[20:21], v[34:35]
	v_div_scale_f64 v[34:35], s[6:7], v[30:31], v[30:31], v[32:33]
	v_rcp_f64_e32 v[50:51], v[34:35]
	v_mov_b32_e32 v53, 0x406e402f
	v_fmac_f64_e32 v[52:53], v[20:21], v[48:49]
	s_mov_b32 s6, 0x9037ab78
	v_fma_f64 v[20:21], -v[34:35], v[50:51], 1.0
	v_fmac_f64_e32 v[50:51], v[50:51], v[20:21]
	v_fma_f64 v[20:21], -v[34:35], v[50:51], 1.0
	v_fmac_f64_e32 v[50:51], v[50:51], v[20:21]
	v_div_scale_f64 v[20:21], vcc, v[32:33], v[30:31], v[32:33]
	v_mul_f64 v[48:49], v[20:21], v[50:51]
	v_fma_f64 v[20:21], -v[34:35], v[48:49], v[20:21]
	s_mov_b32 s7, 0x3e21eeb6
	s_nop 0
	v_div_fmas_f64 v[20:21], v[20:21], v[50:51], v[48:49]
	s_mov_b32 s12, 0x46cc5e42
	v_div_fixup_f64 v[20:21], v[20:21], v[30:31], v[32:33]
	v_mul_f64 v[30:31], v[22:23], v[22:23]
	s_mov_b32 s13, 0xbda907db
	v_pk_mov_b32 v[50:51], s[6:7], s[6:7] op_sel:[0,1]
	s_mov_b32 s14, 0xa17f65f6
	v_mul_f64 v[32:33], v[30:31], 0.5
	v_fma_f64 v[54:55], s[12:13], v[30:31], v[50:51]
	s_mov_b32 s15, 0xbe927e4f
	s_mov_b32 s16, 0x19f4ec90
	v_add_f64 v[34:35], -v[32:33], 1.0
	v_fma_f64 v[54:55], v[30:31], v[54:55], s[14:15]
	s_mov_b32 s17, 0x3efa01a0
	s_mov_b32 s18, 0x16c16967
	v_add_f64 v[48:49], -v[34:35], 1.0
	v_fma_f64 v[54:55], v[30:31], v[54:55], s[16:17]
	s_mov_b32 s19, 0xbf56c16c
	s_mov_b32 s20, 0x55555555
	v_add_f64 v[32:33], v[48:49], -v[32:33]
	v_fma_f64 v[54:55], v[30:31], v[54:55], s[18:19]
	s_mov_b32 s21, 0x3fa55555
	v_mul_f64 v[48:49], v[30:31], v[30:31]
	v_fma_f64 v[54:55], v[30:31], v[54:55], s[20:21]
	v_fma_f64 v[32:33], v[22:23], -v[24:25], v[32:33]
	s_mov_b32 s6, 0xb42fdfa7
	v_fmac_f64_e32 v[32:33], v[48:49], v[54:55]
	s_mov_b32 s7, 0xbe5ae600
	s_mov_b32 s22, 0xf9a43bb8
	v_add_f64 v[32:33], v[34:35], v[32:33]
	s_mov_b32 s23, 0x3de5e0b2
	v_pk_mov_b32 v[34:35], s[6:7], s[6:7] op_sel:[0,1]
	s_mov_b32 s24, 0x796cde01
	v_fma_f64 v[48:49], s[22:23], v[30:31], v[34:35]
	s_mov_b32 s25, 0x3ec71de3
	s_mov_b32 s28, 0x19e83e5c
	v_fma_f64 v[48:49], v[30:31], v[48:49], s[24:25]
	s_mov_b32 s29, 0xbf2a01a0
	;; [unrolled: 3-line block ×3, first 2 shown]
	v_fma_f64 v[48:49], v[30:31], v[48:49], s[30:31]
	v_mul_f64 v[54:55], v[22:23], -v[30:31]
	v_mul_f64 v[64:65], v[24:25], 0.5
	v_fmac_f64_e32 v[64:65], v[54:55], v[48:49]
	v_fma_f64 v[24:25], v[30:31], v[64:65], -v[24:25]
	s_mov_b32 s35, 0xbfc55555
	s_mov_b32 s34, s20
	v_fmac_f64_e32 v[24:25], s[34:35], v[54:55]
	v_add_f64 v[22:23], v[22:23], -v[24:25]
	v_and_b32_e32 v24, 1, v15
	v_xor_b32_e32 v23, 0x80000000, v23
	v_cmp_eq_u32_e32 vcc, 0, v24
	v_lshlrev_b32_e32 v15, 30, v15
	s_mov_b32 s36, 0
	v_cndmask_b32_e32 v30, v22, v32, vcc
	v_cndmask_b32_e32 v22, v23, v33, vcc
	v_and_b32_e32 v15, 0x80000000, v15
	s_mov_b32 s37, 0xc0140000
	v_xor_b32_e32 v15, v22, v15
	v_div_scale_f64 v[22:23], s[6:7], v[2:3], v[2:3], s[36:37]
	v_rcp_f64_e32 v[24:25], v[22:23]
	s_movk_i32 s27, 0x1f8
	v_cmp_class_f64_e64 s[6:7], v[8:9], s27
	v_and_b32_e32 v8, 1, v37
	v_fma_f64 v[32:33], -v[22:23], v[24:25], 1.0
	v_fmac_f64_e32 v[24:25], v[24:25], v[32:33]
	v_fma_f64 v[32:33], -v[22:23], v[24:25], 1.0
	v_fmac_f64_e32 v[24:25], v[24:25], v[32:33]
	v_div_scale_f64 v[32:33], vcc, s[36:37], v[2:3], s[36:37]
	v_mul_f64 v[48:49], v[32:33], v[24:25]
	v_fma_f64 v[22:23], -v[22:23], v[48:49], v[32:33]
	v_div_scale_f64 v[32:33], s[38:39], v[52:53], v[52:53], v[38:39]
	v_rcp_f64_e32 v[54:55], v[32:33]
	v_div_fmas_f64 v[22:23], v[22:23], v[24:25], v[48:49]
	v_div_fixup_f64 v[22:23], v[22:23], v[2:3], s[36:37]
	v_mov_b32_e32 v64, 0x7ff80000
	v_fma_f64 v[24:25], -v[32:33], v[54:55], 1.0
	v_fmac_f64_e32 v[54:55], v[54:55], v[24:25]
	v_fma_f64 v[24:25], -v[32:33], v[54:55], 1.0
	v_fmac_f64_e32 v[54:55], v[54:55], v[24:25]
	v_div_scale_f64 v[24:25], vcc, v[38:39], v[52:53], v[38:39]
	v_mul_f64 v[48:49], v[24:25], v[54:55]
	v_fma_f64 v[24:25], -v[32:33], v[48:49], v[24:25]
	v_cndmask_b32_e64 v31, v64, v15, s[6:7]
	s_nop 0
	v_div_fmas_f64 v[24:25], v[24:25], v[54:55], v[48:49]
	v_div_fixup_f64 v[24:25], v[24:25], v[52:53], v[38:39]
	v_mul_f64 v[22:23], v[22:23], v[24:25]
	v_mul_f64 v[24:25], v[26:27], v[26:27]
	v_mul_f64 v[32:33], v[24:25], 0.5
	v_fmac_f64_e32 v[50:51], s[12:13], v[24:25]
	v_add_f64 v[38:39], -v[32:33], 1.0
	v_fma_f64 v[50:51], v[24:25], v[50:51], s[14:15]
	v_add_f64 v[48:49], -v[38:39], 1.0
	v_fma_f64 v[50:51], v[24:25], v[50:51], s[16:17]
	v_add_f64 v[32:33], v[48:49], -v[32:33]
	v_fma_f64 v[50:51], v[24:25], v[50:51], s[18:19]
	v_fmac_f64_e32 v[34:35], s[22:23], v[24:25]
	v_mul_f64 v[48:49], v[24:25], v[24:25]
	v_fma_f64 v[50:51], v[24:25], v[50:51], s[20:21]
	v_fma_f64 v[32:33], v[26:27], -v[28:29], v[32:33]
	v_fma_f64 v[34:35], v[24:25], v[34:35], s[24:25]
	v_fmac_f64_e32 v[32:33], v[48:49], v[50:51]
	v_fma_f64 v[34:35], v[24:25], v[34:35], s[28:29]
	v_add_f64 v[32:33], v[38:39], v[32:33]
	v_fma_f64 v[34:35], v[24:25], v[34:35], s[30:31]
	v_mul_f64 v[38:39], v[26:27], -v[24:25]
	v_mul_f64 v[48:49], v[28:29], 0.5
	v_fmac_f64_e32 v[48:49], v[38:39], v[34:35]
	v_fma_f64 v[24:25], v[24:25], v[48:49], -v[28:29]
	v_fmac_f64_e32 v[24:25], s[34:35], v[38:39]
	v_add_f64 v[24:25], v[26:27], -v[24:25]
	v_cmp_eq_u32_e32 vcc, 0, v8
	v_cndmask_b32_e32 v8, v32, v24, vcc
	v_lshlrev_b32_e32 v24, 30, v37
	v_xor_b32_e32 v9, v24, v9
	v_cndmask_b32_e32 v15, v33, v25, vcc
	v_and_b32_e32 v9, 0x80000000, v9
	v_xor_b32_e32 v9, v15, v9
	v_cndmask_b32_e64 v30, 0, v30, s[6:7]
	v_cndmask_b32_e64 v8, 0, v8, s[6:7]
	v_cndmask_b32_e64 v9, v64, v9, s[6:7]
	s_mov_b32 s6, 0
	s_brev_b32 s7, 8
	v_cmp_gt_f64_e32 vcc, s[6:7], v[2:3]
	v_cndmask_b32_e64 v15, 0, 1, vcc
	v_lshlrev_b32_e32 v15, 8, v15
	v_mul_f64 v[8:9], v[22:23], v[8:9]
	v_ldexp_f64 v[2:3], v[2:3], v15
	v_fmac_f64_e32 v[8:9], v[20:21], v[30:31]
	v_rsq_f64_e32 v[20:21], v[2:3]
	v_mov_b32_e32 v15, 0xffffff80
	v_cndmask_b32_e32 v15, 0, v15, vcc
	s_mov_b32 s6, 0x33d43651
	v_mul_f64 v[22:23], v[2:3], v[20:21]
	v_mul_f64 v[20:21], v[20:21], 0.5
	v_fma_f64 v[24:25], -v[20:21], v[22:23], 0.5
	v_fmac_f64_e32 v[22:23], v[22:23], v[24:25]
	v_fma_f64 v[26:27], -v[22:23], v[22:23], v[2:3]
	v_fmac_f64_e32 v[20:21], v[20:21], v[24:25]
	v_fmac_f64_e32 v[22:23], v[26:27], v[20:21]
	v_fma_f64 v[24:25], -v[22:23], v[22:23], v[2:3]
	v_fmac_f64_e32 v[22:23], v[24:25], v[20:21]
	v_ldexp_f64 v[20:21], v[22:23], v15
	v_mov_b32_e32 v15, 0x260
	s_mov_b32 s7, 0x3fe98845
	v_cmp_class_f64_e32 vcc, v[2:3], v15
	v_mul_f64 v[8:9], v[8:9], s[6:7]
	v_cndmask_b32_e32 v3, v21, v3, vcc
	v_cndmask_b32_e32 v2, v20, v2, vcc
	v_div_scale_f64 v[20:21], s[6:7], v[2:3], v[2:3], v[8:9]
	v_rcp_f64_e32 v[22:23], v[20:21]
	v_fma_f64 v[24:25], -v[20:21], v[22:23], 1.0
	v_fmac_f64_e32 v[22:23], v[22:23], v[24:25]
	v_fma_f64 v[24:25], -v[20:21], v[22:23], 1.0
	v_fmac_f64_e32 v[22:23], v[22:23], v[24:25]
	v_div_scale_f64 v[24:25], vcc, v[8:9], v[2:3], v[8:9]
	v_mul_f64 v[26:27], v[24:25], v[22:23]
	v_fma_f64 v[20:21], -v[20:21], v[26:27], v[24:25]
	s_nop 1
	v_div_fmas_f64 v[20:21], v[20:21], v[22:23], v[26:27]
	v_div_fixup_f64 v[8:9], v[20:21], v[2:3], v[8:9]
.LBB0_43:
	s_or_b64 exec, exec, s[10:11]
.LBB0_44:
	s_or_b64 exec, exec, s[8:9]
	v_add_u32_e32 v2, 0x200, v5
	v_cmp_lt_i32_e32 vcc, v2, v4
	s_and_saveexec_b64 s[8:9], vcc
	s_cbranch_execz .LBB0_62
; %bb.45:
	s_waitcnt vmcnt(0) lgkmcnt(0)
	v_xor_b32_e32 v2, 0x80000000, v19
	v_cmp_gt_f64_e32 vcc, 0, v[18:19]
	s_mov_b32 s6, 0
	v_cndmask_b32_e32 v3, v19, v2, vcc
	v_cndmask_b32_e32 v2, v18, v18, vcc
	s_mov_b32 s7, 0x40140000
	v_cmp_ge_f64_e32 vcc, s[6:7], v[2:3]
	v_mul_f64 v[18:19], v[2:3], v[2:3]
	s_and_saveexec_b64 s[6:7], vcc
	s_xor_b64 s[6:7], exec, s[6:7]
	s_cbranch_execz .LBB0_51
; %bb.46:
	s_mov_b32 s10, 0x88e368f1
	s_mov_b32 s11, 0x3ee4f8b5
	v_cmp_ngt_f64_e32 vcc, s[10:11], v[2:3]
	s_and_saveexec_b64 s[10:11], vcc
	s_xor_b64 s[10:11], exec, s[10:11]
	s_cbranch_execz .LBB0_48
; %bb.47:
	v_mov_b32_e32 v2, 0xad1c8325
	v_mov_b32_e32 v3, 0xc1f1dc53
	v_fmac_f64_e32 v[2:3], 0, v[18:19]
	v_mov_b32_e32 v10, 0xc772990d
	v_mov_b32_e32 v11, 0x427c7751
	v_fmac_f64_e32 v[10:11], v[18:19], v[2:3]
	;; [unrolled: 3-line block ×10, first 2 shown]
	v_mov_b32_e32 v20, 0xc7b662cc
	v_mov_b32_e32 v21, 0x43b7be34
	s_mov_b32 s12, 0x80462bbb
	v_fmac_f64_e32 v[20:21], v[18:19], v[10:11]
	v_mov_b32_e32 v10, 0x69ff5fb4
	v_mov_b32_e32 v11, 0x43413ef8
	s_mov_b32 s13, 0xc01721fb
	v_fmac_f64_e32 v[10:11], v[18:19], v[2:3]
	v_add_f64 v[2:3], v[18:19], s[12:13]
	s_mov_b32 s12, 0xa621dd6f
	s_mov_b32 s13, 0xc03e78a4
	v_add_f64 v[18:19], v[18:19], s[12:13]
	v_mul_f64 v[2:3], v[2:3], v[18:19]
	v_mul_f64 v[2:3], v[2:3], v[10:11]
	v_div_scale_f64 v[10:11], s[12:13], v[20:21], v[20:21], v[2:3]
	v_rcp_f64_e32 v[18:19], v[10:11]
	v_fma_f64 v[22:23], -v[10:11], v[18:19], 1.0
	v_fmac_f64_e32 v[18:19], v[18:19], v[22:23]
	v_fma_f64 v[22:23], -v[10:11], v[18:19], 1.0
	v_fmac_f64_e32 v[18:19], v[18:19], v[22:23]
	v_div_scale_f64 v[22:23], vcc, v[2:3], v[20:21], v[2:3]
	v_mul_f64 v[24:25], v[22:23], v[18:19]
	v_fma_f64 v[10:11], -v[10:11], v[24:25], v[22:23]
	s_nop 1
	v_div_fmas_f64 v[10:11], v[10:11], v[18:19], v[24:25]
	v_div_fixup_f64 v[10:11], v[10:11], v[20:21], v[2:3]
                                        ; implicit-def: $vgpr18_vgpr19
.LBB0_48:
	s_andn2_saveexec_b64 s[10:11], s[10:11]
; %bb.49:
	s_mov_b32 s12, 0
	s_mov_b32 s13, 0xbfd00000
	v_fma_f64 v[10:11], v[18:19], s[12:13], 1.0
; %bb.50:
	s_or_b64 exec, exec, s[10:11]
                                        ; implicit-def: $vgpr18_vgpr19
                                        ; implicit-def: $vgpr2_vgpr3
.LBB0_51:
	s_andn2_saveexec_b64 s[10:11], s[6:7]
	s_cbranch_execz .LBB0_61
; %bb.52:
	s_mov_b32 s15, 0xbfe921fb
	s_mov_b32 s14, 0x54442d18
	;; [unrolled: 1-line block ×3, first 2 shown]
	v_add_f64 v[10:11], v[2:3], s[14:15]
	s_mov_b32 s7, 0x41d00000
	v_cmp_nlt_f64_e64 s[12:13], |v[10:11]|, s[6:7]
	v_trig_preop_f64 v[32:33], |v[10:11]|, 0
	v_trig_preop_f64 v[30:31], |v[10:11]|, 1
	;; [unrolled: 1-line block ×3, first 2 shown]
                                        ; implicit-def: $vgpr15
                                        ; implicit-def: $vgpr20_vgpr21
                                        ; implicit-def: $vgpr22_vgpr23
	s_and_saveexec_b64 s[6:7], s[12:13]
	s_xor_b64 s[16:17], exec, s[6:7]
	s_cbranch_execz .LBB0_54
; %bb.53:
	s_mov_b32 s6, 0
	s_mov_b32 s7, 0x7b000000
	s_movk_i32 s15, 0xff80
	v_and_b32_e32 v15, 0x7fffffff, v11
	v_ldexp_f64 v[20:21], |v[10:11]|, s15
	v_cmp_ge_f64_e64 vcc, |v[10:11]|, s[6:7]
	v_cndmask_b32_e32 v21, v15, v21, vcc
	v_cndmask_b32_e32 v20, v10, v20, vcc
	v_mul_f64 v[24:25], v[32:33], v[20:21]
	v_mul_f64 v[22:23], v[30:31], v[20:21]
	v_fma_f64 v[26:27], v[32:33], v[20:21], -v[24:25]
	v_add_f64 v[34:35], v[22:23], v[26:27]
	v_add_f64 v[38:39], v[24:25], v[34:35]
	s_mov_b32 s6, 0
	v_ldexp_f64 v[48:49], v[38:39], -2
	s_mov_b32 s7, 0x7ff00000
	v_fract_f64_e32 v[50:51], v[48:49]
	v_cmp_neq_f64_e64 vcc, |v[48:49]|, s[6:7]
	v_cndmask_b32_e32 v49, 0, v51, vcc
	v_cndmask_b32_e32 v48, 0, v50, vcc
	v_add_f64 v[50:51], v[34:35], -v[22:23]
	v_add_f64 v[26:27], v[26:27], -v[50:51]
	;; [unrolled: 1-line block ×4, first 2 shown]
	v_add_f64 v[26:27], v[26:27], v[50:51]
	v_fma_f64 v[22:23], v[30:31], v[20:21], -v[22:23]
	v_mul_f64 v[50:51], v[28:29], v[20:21]
	v_add_f64 v[54:55], v[50:51], v[22:23]
	v_add_f64 v[64:65], v[54:55], v[26:27]
	v_add_f64 v[24:25], v[38:39], -v[24:25]
	v_add_f64 v[38:39], v[64:65], -v[54:55]
	;; [unrolled: 1-line block ×5, first 2 shown]
	v_add_f64 v[26:27], v[26:27], v[38:39]
	v_add_f64 v[38:39], v[54:55], -v[50:51]
	v_add_f64 v[22:23], v[22:23], -v[38:39]
	;; [unrolled: 1-line block ×5, first 2 shown]
	v_add_f64 v[34:35], v[24:25], v[64:65]
	v_add_f64 v[22:23], v[22:23], v[38:39]
	v_add_f64 v[24:25], v[34:35], -v[24:25]
	v_add_f64 v[22:23], v[22:23], v[26:27]
	v_fma_f64 v[20:21], v[28:29], v[20:21], -v[50:51]
	v_add_f64 v[24:25], v[64:65], -v[24:25]
	v_add_f64 v[20:21], v[20:21], v[22:23]
	v_ldexp_f64 v[22:23], v[48:49], 2
	v_add_f64 v[20:21], v[24:25], v[20:21]
	v_add_f64 v[24:25], v[34:35], v[22:23]
	v_mov_b32_e32 v15, 0x40100000
	v_cmp_gt_f64_e32 vcc, 0, v[24:25]
	v_mov_b32_e32 v52, 0
	v_cndmask_b32_e32 v53, 0, v15, vcc
	v_add_f64 v[22:23], v[22:23], v[52:53]
	v_add_f64 v[24:25], v[34:35], v[22:23]
	v_cvt_i32_f64_e32 v15, v[24:25]
	v_cvt_f64_i32_e32 v[24:25], v15
	v_add_f64 v[22:23], v[22:23], -v[24:25]
	v_add_f64 v[24:25], v[34:35], v[22:23]
	v_add_f64 v[22:23], v[24:25], -v[22:23]
	v_add_f64 v[22:23], v[34:35], -v[22:23]
	v_add_f64 v[20:21], v[20:21], v[22:23]
	v_cmp_le_f64_e32 vcc, 0.5, v[24:25]
	v_mov_b32_e32 v22, 0x3ff00000
	v_cndmask_b32_e32 v53, 0, v22, vcc
	v_add_f64 v[22:23], v[24:25], -v[52:53]
	v_add_f64 v[24:25], v[22:23], v[20:21]
	v_addc_co_u32_e64 v15, s[6:7], 0, v15, vcc
	v_add_f64 v[22:23], v[24:25], -v[22:23]
	s_mov_b32 s15, 0x3ff921fb
	v_add_f64 v[20:21], v[20:21], -v[22:23]
	v_mul_f64 v[22:23], v[24:25], s[14:15]
	s_mov_b32 s6, 0x33145c07
	v_fma_f64 v[26:27], v[24:25], s[14:15], -v[22:23]
	s_mov_b32 s7, 0x3c91a626
	v_fmac_f64_e32 v[26:27], s[6:7], v[24:25]
	v_fmac_f64_e32 v[26:27], s[14:15], v[20:21]
	v_add_f64 v[20:21], v[22:23], v[26:27]
	v_add_f64 v[22:23], v[20:21], -v[22:23]
	v_add_f64 v[22:23], v[26:27], -v[22:23]
	s_andn2_saveexec_b64 s[6:7], s[16:17]
	s_cbranch_execz .LBB0_56
	s_branch .LBB0_55
.LBB0_54:
	s_andn2_saveexec_b64 s[6:7], s[16:17]
	s_cbranch_execz .LBB0_56
.LBB0_55:
	s_mov_b32 s14, 0x6dc9c883
	s_mov_b32 s15, 0x3fe45f30
	v_mul_f64 v[20:21], |v[10:11]|, s[14:15]
	s_mov_b32 s14, 0x54442d18
	v_rndne_f64_e32 v[24:25], v[20:21]
	s_mov_b32 s15, 0xbff921fb
	v_fma_f64 v[20:21], v[24:25], s[14:15], |v[10:11]|
	s_mov_b32 s15, 0xbc91a626
	s_mov_b32 s14, 0x33145c00
	v_mul_f64 v[26:27], v[24:25], s[14:15]
	v_add_f64 v[38:39], v[20:21], v[26:27]
	v_fma_f64 v[22:23], s[14:15], v[24:25], v[20:21]
	s_mov_b32 s15, 0x3c91a626
	v_add_f64 v[20:21], v[20:21], -v[38:39]
	v_fma_f64 v[34:35], s[14:15], v[24:25], v[26:27]
	v_add_f64 v[20:21], v[20:21], v[26:27]
	v_add_f64 v[26:27], v[38:39], -v[22:23]
	v_add_f64 v[20:21], v[26:27], v[20:21]
	s_mov_b32 s14, 0x252049c0
	v_add_f64 v[26:27], v[20:21], -v[34:35]
	s_mov_b32 s15, 0xb97b839a
	v_fmac_f64_e32 v[26:27], s[14:15], v[24:25]
	v_add_f64 v[20:21], v[22:23], v[26:27]
	v_add_f64 v[22:23], v[20:21], -v[22:23]
	v_add_f64 v[22:23], v[26:27], -v[22:23]
	v_cvt_i32_f64_e32 v15, v[24:25]
.LBB0_56:
	s_or_b64 exec, exec, s[6:7]
                                        ; implicit-def: $vgpr34
                                        ; implicit-def: $vgpr24_vgpr25
                                        ; implicit-def: $vgpr26_vgpr27
	s_and_saveexec_b64 s[6:7], s[12:13]
	s_xor_b64 s[12:13], exec, s[6:7]
	s_cbranch_execz .LBB0_58
; %bb.57:
	s_mov_b32 s6, 0
	s_mov_b32 s7, 0x7b000000
	s_movk_i32 s14, 0xff80
	v_and_b32_e32 v26, 0x7fffffff, v11
	v_ldexp_f64 v[24:25], |v[10:11]|, s14
	v_cmp_ge_f64_e64 vcc, |v[10:11]|, s[6:7]
	v_cndmask_b32_e32 v25, v26, v25, vcc
	v_cndmask_b32_e32 v24, v10, v24, vcc
	v_mul_f64 v[34:35], v[32:33], v[24:25]
	v_mul_f64 v[26:27], v[30:31], v[24:25]
	v_fma_f64 v[32:33], v[32:33], v[24:25], -v[34:35]
	v_add_f64 v[38:39], v[26:27], v[32:33]
	v_add_f64 v[48:49], v[34:35], v[38:39]
	s_mov_b32 s6, 0
	v_ldexp_f64 v[50:51], v[48:49], -2
	s_mov_b32 s7, 0x7ff00000
	v_fract_f64_e32 v[52:53], v[50:51]
	v_cmp_neq_f64_e64 vcc, |v[50:51]|, s[6:7]
	v_cndmask_b32_e32 v51, 0, v53, vcc
	v_cndmask_b32_e32 v50, 0, v52, vcc
	v_add_f64 v[52:53], v[38:39], -v[26:27]
	v_add_f64 v[32:33], v[32:33], -v[52:53]
	;; [unrolled: 1-line block ×4, first 2 shown]
	v_fma_f64 v[26:27], v[30:31], v[24:25], -v[26:27]
	v_mul_f64 v[30:31], v[28:29], v[24:25]
	v_add_f64 v[32:33], v[32:33], v[52:53]
	v_add_f64 v[52:53], v[30:31], v[26:27]
	;; [unrolled: 1-line block ×3, first 2 shown]
	v_add_f64 v[34:35], v[48:49], -v[34:35]
	v_add_f64 v[48:49], v[64:65], -v[52:53]
	;; [unrolled: 1-line block ×5, first 2 shown]
	v_add_f64 v[32:33], v[32:33], v[48:49]
	v_add_f64 v[48:49], v[52:53], -v[30:31]
	v_add_f64 v[26:27], v[26:27], -v[48:49]
	;; [unrolled: 1-line block ×4, first 2 shown]
	v_add_f64 v[26:27], v[26:27], v[48:49]
	v_add_f64 v[34:35], v[38:39], -v[34:35]
	v_add_f64 v[26:27], v[26:27], v[32:33]
	v_fma_f64 v[24:25], v[28:29], v[24:25], -v[30:31]
	v_add_f64 v[38:39], v[34:35], v[64:65]
	v_add_f64 v[24:25], v[24:25], v[26:27]
	v_ldexp_f64 v[26:27], v[50:51], 2
	v_add_f64 v[28:29], v[38:39], v[26:27]
	v_mov_b32_e32 v30, 0x40100000
	v_cmp_gt_f64_e32 vcc, 0, v[28:29]
	v_mov_b32_e32 v54, 0
	v_cndmask_b32_e32 v55, 0, v30, vcc
	v_add_f64 v[26:27], v[26:27], v[54:55]
	v_add_f64 v[28:29], v[38:39], v[26:27]
	v_cvt_i32_f64_e32 v30, v[28:29]
	v_cvt_f64_i32_e32 v[28:29], v30
	v_add_f64 v[26:27], v[26:27], -v[28:29]
	v_add_f64 v[34:35], v[38:39], -v[34:35]
	v_add_f64 v[28:29], v[38:39], v[26:27]
	v_add_f64 v[34:35], v[64:65], -v[34:35]
	v_add_f64 v[26:27], v[28:29], -v[26:27]
	v_add_f64 v[24:25], v[34:35], v[24:25]
	v_add_f64 v[26:27], v[38:39], -v[26:27]
	v_add_f64 v[24:25], v[24:25], v[26:27]
	v_cmp_le_f64_e32 vcc, 0.5, v[28:29]
	v_mov_b32_e32 v26, 0x3ff00000
	v_cndmask_b32_e32 v55, 0, v26, vcc
	v_addc_co_u32_e64 v34, s[6:7], 0, v30, vcc
	v_add_f64 v[26:27], v[28:29], -v[54:55]
	v_add_f64 v[28:29], v[26:27], v[24:25]
	s_mov_b32 s6, 0x54442d18
	v_add_f64 v[26:27], v[28:29], -v[26:27]
	s_mov_b32 s7, 0x3ff921fb
	v_add_f64 v[24:25], v[24:25], -v[26:27]
	v_mul_f64 v[26:27], v[28:29], s[6:7]
	s_mov_b32 s14, 0x33145c07
	v_fma_f64 v[30:31], v[28:29], s[6:7], -v[26:27]
	s_mov_b32 s15, 0x3c91a626
	v_fmac_f64_e32 v[30:31], s[14:15], v[28:29]
	v_fmac_f64_e32 v[30:31], s[6:7], v[24:25]
	v_add_f64 v[24:25], v[26:27], v[30:31]
	v_add_f64 v[26:27], v[24:25], -v[26:27]
	v_add_f64 v[26:27], v[30:31], -v[26:27]
	s_andn2_saveexec_b64 s[6:7], s[12:13]
	s_cbranch_execnz .LBB0_59
	s_branch .LBB0_60
.LBB0_58:
	s_andn2_saveexec_b64 s[6:7], s[12:13]
	s_cbranch_execz .LBB0_60
.LBB0_59:
	s_mov_b32 s12, 0x6dc9c883
	s_mov_b32 s13, 0x3fe45f30
	v_mul_f64 v[24:25], |v[10:11]|, s[12:13]
	s_mov_b32 s12, 0x54442d18
	v_rndne_f64_e32 v[28:29], v[24:25]
	s_mov_b32 s13, 0xbff921fb
	v_fma_f64 v[24:25], v[28:29], s[12:13], |v[10:11]|
	s_mov_b32 s13, 0xbc91a626
	s_mov_b32 s12, 0x33145c00
	v_mul_f64 v[30:31], v[28:29], s[12:13]
	v_add_f64 v[34:35], v[24:25], v[30:31]
	v_fma_f64 v[26:27], s[12:13], v[28:29], v[24:25]
	s_mov_b32 s13, 0x3c91a626
	v_add_f64 v[24:25], v[24:25], -v[34:35]
	v_fma_f64 v[32:33], s[12:13], v[28:29], v[30:31]
	v_add_f64 v[24:25], v[24:25], v[30:31]
	v_add_f64 v[30:31], v[34:35], -v[26:27]
	v_add_f64 v[24:25], v[30:31], v[24:25]
	s_mov_b32 s12, 0x252049c0
	v_add_f64 v[30:31], v[24:25], -v[32:33]
	s_mov_b32 s13, 0xb97b839a
	v_fmac_f64_e32 v[30:31], s[12:13], v[28:29]
	v_add_f64 v[24:25], v[26:27], v[30:31]
	v_add_f64 v[26:27], v[24:25], -v[26:27]
	v_add_f64 v[26:27], v[30:31], -v[26:27]
	v_cvt_i32_f64_e32 v34, v[28:29]
.LBB0_60:
	s_or_b64 exec, exec, s[6:7]
	s_mov_b32 s6, 0
	s_mov_b32 s7, 0x40390000
	v_div_scale_f64 v[28:29], s[12:13], v[18:19], v[18:19], s[6:7]
	v_rcp_f64_e32 v[30:31], v[28:29]
	v_mov_b32_e32 v48, 0xb1759c7f
	v_mov_b32_e32 v49, 0x408ac370
	;; [unrolled: 1-line block ×3, first 2 shown]
	v_fma_f64 v[32:33], -v[28:29], v[30:31], 1.0
	v_fmac_f64_e32 v[30:31], v[30:31], v[32:33]
	v_fma_f64 v[32:33], -v[28:29], v[30:31], 1.0
	v_fmac_f64_e32 v[30:31], v[30:31], v[32:33]
	v_div_scale_f64 v[32:33], vcc, s[6:7], v[18:19], s[6:7]
	v_mul_f64 v[38:39], v[32:33], v[30:31]
	v_fma_f64 v[28:29], -v[28:29], v[38:39], v[32:33]
	v_mov_b32_e32 v32, 0xab5454e3
	s_nop 0
	v_div_fmas_f64 v[28:29], v[28:29], v[30:31], v[38:39]
	v_div_fixup_f64 v[18:19], v[28:29], v[18:19], s[6:7]
	v_mov_b32_e32 v28, 0x983b6b27
	v_mov_b32_e32 v29, 0x3f4a1d30
	v_fmac_f64_e32 v[28:29], 0, v[18:19]
	v_mov_b32_e32 v30, 0xb35dd1cf
	v_mov_b32_e32 v31, 0x3fb534b0
	v_fmac_f64_e32 v[30:31], v[18:19], v[28:29]
	;; [unrolled: 3-line block ×7, first 2 shown]
	v_mov_b32_e32 v33, 0x3fb5ebc5
	v_fmac_f64_e32 v[32:33], v[18:19], v[28:29]
	v_mov_b32_e32 v28, 0xc9b3069f
	v_mov_b32_e32 v29, 0x3ff40e72
	v_fmac_f64_e32 v[28:29], v[18:19], v[32:33]
	v_mov_b32_e32 v32, 0xe68162bb
	;; [unrolled: 3-line block ×4, first 2 shown]
	v_mov_b32_e32 v33, 0x40153965
	v_fmac_f64_e32 v[32:33], v[18:19], v[28:29]
	v_fma_f64 v[28:29], v[18:19], v[32:33], 1.0
	v_mov_b32_e32 v32, 0x38a5384a
	v_mov_b32_e32 v33, 0xbf874742
	v_fmac_f64_e32 v[32:33], 0, v[18:19]
	v_mov_b32_e32 v38, 0x3a321174
	v_mov_b32_e32 v39, 0xbff4853b
	v_fmac_f64_e32 v[38:39], v[18:19], v[32:33]
	;; [unrolled: 3-line block ×9, first 2 shown]
	v_fmac_f64_e32 v[48:49], v[18:19], v[32:33]
	v_mov_b32_e32 v32, 0xbd748cb5
	v_mov_b32_e32 v33, 0x40ae54cd
	v_fmac_f64_e32 v[32:33], v[18:19], v[48:49]
	v_mov_b32_e32 v48, 0xbdefd63e
	v_mov_b32_e32 v49, 0x40bc4877
	;; [unrolled: 3-line block ×4, first 2 shown]
	v_fma_f64 v[30:31], v[18:19], v[30:31], 1.0
	v_fmac_f64_e32 v[48:49], v[18:19], v[32:33]
	v_div_scale_f64 v[32:33], s[6:7], v[28:29], v[28:29], v[30:31]
	v_rcp_f64_e32 v[50:51], v[32:33]
	v_mov_b32_e32 v53, 0x406e402f
	v_fmac_f64_e32 v[52:53], v[18:19], v[48:49]
	s_mov_b32 s6, 0x9037ab78
	v_fma_f64 v[18:19], -v[32:33], v[50:51], 1.0
	v_fmac_f64_e32 v[50:51], v[50:51], v[18:19]
	v_fma_f64 v[18:19], -v[32:33], v[50:51], 1.0
	v_fmac_f64_e32 v[50:51], v[50:51], v[18:19]
	v_div_scale_f64 v[18:19], vcc, v[30:31], v[28:29], v[30:31]
	v_mul_f64 v[48:49], v[18:19], v[50:51]
	v_fma_f64 v[18:19], -v[32:33], v[48:49], v[18:19]
	s_mov_b32 s7, 0x3e21eeb6
	s_nop 0
	v_div_fmas_f64 v[18:19], v[18:19], v[50:51], v[48:49]
	s_mov_b32 s12, 0x46cc5e42
	v_div_fixup_f64 v[18:19], v[18:19], v[28:29], v[30:31]
	v_mul_f64 v[28:29], v[20:21], v[20:21]
	s_mov_b32 s13, 0xbda907db
	v_pk_mov_b32 v[50:51], s[6:7], s[6:7] op_sel:[0,1]
	s_mov_b32 s14, 0xa17f65f6
	v_mul_f64 v[30:31], v[28:29], 0.5
	v_fma_f64 v[54:55], s[12:13], v[28:29], v[50:51]
	s_mov_b32 s15, 0xbe927e4f
	s_mov_b32 s16, 0x19f4ec90
	v_add_f64 v[32:33], -v[30:31], 1.0
	v_fma_f64 v[54:55], v[28:29], v[54:55], s[14:15]
	s_mov_b32 s17, 0x3efa01a0
	s_mov_b32 s18, 0x16c16967
	v_add_f64 v[48:49], -v[32:33], 1.0
	v_fma_f64 v[54:55], v[28:29], v[54:55], s[16:17]
	s_mov_b32 s19, 0xbf56c16c
	s_mov_b32 s20, 0x55555555
	v_add_f64 v[30:31], v[48:49], -v[30:31]
	v_fma_f64 v[54:55], v[28:29], v[54:55], s[18:19]
	s_mov_b32 s21, 0x3fa55555
	v_mul_f64 v[48:49], v[28:29], v[28:29]
	v_fma_f64 v[54:55], v[28:29], v[54:55], s[20:21]
	v_fma_f64 v[30:31], v[20:21], -v[22:23], v[30:31]
	s_mov_b32 s6, 0xb42fdfa7
	v_fmac_f64_e32 v[30:31], v[48:49], v[54:55]
	s_mov_b32 s7, 0xbe5ae600
	s_mov_b32 s22, 0xf9a43bb8
	v_add_f64 v[30:31], v[32:33], v[30:31]
	s_mov_b32 s23, 0x3de5e0b2
	v_pk_mov_b32 v[32:33], s[6:7], s[6:7] op_sel:[0,1]
	s_mov_b32 s24, 0x796cde01
	v_fma_f64 v[48:49], s[22:23], v[28:29], v[32:33]
	s_mov_b32 s25, 0x3ec71de3
	s_mov_b32 s28, 0x19e83e5c
	v_fma_f64 v[48:49], v[28:29], v[48:49], s[24:25]
	s_mov_b32 s29, 0xbf2a01a0
	;; [unrolled: 3-line block ×3, first 2 shown]
	v_fma_f64 v[48:49], v[28:29], v[48:49], s[30:31]
	v_mul_f64 v[54:55], v[20:21], -v[28:29]
	v_mul_f64 v[64:65], v[22:23], 0.5
	v_fmac_f64_e32 v[64:65], v[54:55], v[48:49]
	v_fma_f64 v[22:23], v[28:29], v[64:65], -v[22:23]
	s_mov_b32 s35, 0xbfc55555
	s_mov_b32 s34, s20
	v_fmac_f64_e32 v[22:23], s[34:35], v[54:55]
	v_add_f64 v[20:21], v[20:21], -v[22:23]
	v_and_b32_e32 v22, 1, v15
	v_xor_b32_e32 v21, 0x80000000, v21
	v_cmp_eq_u32_e32 vcc, 0, v22
	v_lshlrev_b32_e32 v15, 30, v15
	s_mov_b32 s36, 0
	v_cndmask_b32_e32 v28, v20, v30, vcc
	v_cndmask_b32_e32 v20, v21, v31, vcc
	v_and_b32_e32 v15, 0x80000000, v15
	s_mov_b32 s37, 0xc0140000
	v_xor_b32_e32 v15, v20, v15
	v_div_scale_f64 v[20:21], s[6:7], v[2:3], v[2:3], s[36:37]
	v_rcp_f64_e32 v[22:23], v[20:21]
	s_movk_i32 s27, 0x1f8
	v_cmp_class_f64_e64 s[6:7], v[10:11], s27
	v_and_b32_e32 v10, 1, v34
	v_fma_f64 v[30:31], -v[20:21], v[22:23], 1.0
	v_fmac_f64_e32 v[22:23], v[22:23], v[30:31]
	v_fma_f64 v[30:31], -v[20:21], v[22:23], 1.0
	v_fmac_f64_e32 v[22:23], v[22:23], v[30:31]
	v_div_scale_f64 v[30:31], vcc, s[36:37], v[2:3], s[36:37]
	v_mul_f64 v[48:49], v[30:31], v[22:23]
	v_fma_f64 v[20:21], -v[20:21], v[48:49], v[30:31]
	v_div_scale_f64 v[30:31], s[38:39], v[52:53], v[52:53], v[38:39]
	v_rcp_f64_e32 v[54:55], v[30:31]
	v_div_fmas_f64 v[20:21], v[20:21], v[22:23], v[48:49]
	v_div_fixup_f64 v[20:21], v[20:21], v[2:3], s[36:37]
	v_mov_b32_e32 v35, 0x7ff80000
	v_fma_f64 v[22:23], -v[30:31], v[54:55], 1.0
	v_fmac_f64_e32 v[54:55], v[54:55], v[22:23]
	v_fma_f64 v[22:23], -v[30:31], v[54:55], 1.0
	v_fmac_f64_e32 v[54:55], v[54:55], v[22:23]
	v_div_scale_f64 v[22:23], vcc, v[38:39], v[52:53], v[38:39]
	v_mul_f64 v[48:49], v[22:23], v[54:55]
	v_fma_f64 v[22:23], -v[30:31], v[48:49], v[22:23]
	v_cndmask_b32_e64 v29, v35, v15, s[6:7]
	s_nop 0
	v_div_fmas_f64 v[22:23], v[22:23], v[54:55], v[48:49]
	v_div_fixup_f64 v[22:23], v[22:23], v[52:53], v[38:39]
	v_mul_f64 v[20:21], v[20:21], v[22:23]
	v_mul_f64 v[22:23], v[24:25], v[24:25]
	v_mul_f64 v[30:31], v[22:23], 0.5
	v_fmac_f64_e32 v[50:51], s[12:13], v[22:23]
	v_add_f64 v[38:39], -v[30:31], 1.0
	v_fma_f64 v[50:51], v[22:23], v[50:51], s[14:15]
	v_add_f64 v[48:49], -v[38:39], 1.0
	v_fma_f64 v[50:51], v[22:23], v[50:51], s[16:17]
	v_add_f64 v[30:31], v[48:49], -v[30:31]
	v_fma_f64 v[50:51], v[22:23], v[50:51], s[18:19]
	v_fmac_f64_e32 v[32:33], s[22:23], v[22:23]
	v_mul_f64 v[48:49], v[22:23], v[22:23]
	v_fma_f64 v[50:51], v[22:23], v[50:51], s[20:21]
	v_fma_f64 v[30:31], v[24:25], -v[26:27], v[30:31]
	v_fma_f64 v[32:33], v[22:23], v[32:33], s[24:25]
	v_fmac_f64_e32 v[30:31], v[48:49], v[50:51]
	v_fma_f64 v[32:33], v[22:23], v[32:33], s[28:29]
	v_add_f64 v[30:31], v[38:39], v[30:31]
	v_fma_f64 v[32:33], v[22:23], v[32:33], s[30:31]
	v_mul_f64 v[38:39], v[24:25], -v[22:23]
	v_mul_f64 v[48:49], v[26:27], 0.5
	v_fmac_f64_e32 v[48:49], v[38:39], v[32:33]
	v_fma_f64 v[22:23], v[22:23], v[48:49], -v[26:27]
	v_fmac_f64_e32 v[22:23], s[34:35], v[38:39]
	v_add_f64 v[22:23], v[24:25], -v[22:23]
	v_cmp_eq_u32_e32 vcc, 0, v10
	v_cndmask_b32_e32 v10, v30, v22, vcc
	v_lshlrev_b32_e32 v22, 30, v34
	v_xor_b32_e32 v11, v22, v11
	v_cndmask_b32_e32 v15, v31, v23, vcc
	v_and_b32_e32 v11, 0x80000000, v11
	v_xor_b32_e32 v11, v15, v11
	v_cndmask_b32_e64 v28, 0, v28, s[6:7]
	v_cndmask_b32_e64 v10, 0, v10, s[6:7]
	;; [unrolled: 1-line block ×3, first 2 shown]
	s_mov_b32 s6, 0
	s_brev_b32 s7, 8
	v_cmp_gt_f64_e32 vcc, s[6:7], v[2:3]
	v_cndmask_b32_e64 v15, 0, 1, vcc
	v_lshlrev_b32_e32 v15, 8, v15
	v_mul_f64 v[10:11], v[20:21], v[10:11]
	v_ldexp_f64 v[2:3], v[2:3], v15
	v_fmac_f64_e32 v[10:11], v[18:19], v[28:29]
	v_rsq_f64_e32 v[18:19], v[2:3]
	v_mov_b32_e32 v15, 0xffffff80
	v_cndmask_b32_e32 v15, 0, v15, vcc
	s_mov_b32 s6, 0x33d43651
	v_mul_f64 v[20:21], v[2:3], v[18:19]
	v_mul_f64 v[18:19], v[18:19], 0.5
	v_fma_f64 v[22:23], -v[18:19], v[20:21], 0.5
	v_fmac_f64_e32 v[20:21], v[20:21], v[22:23]
	v_fma_f64 v[24:25], -v[20:21], v[20:21], v[2:3]
	v_fmac_f64_e32 v[18:19], v[18:19], v[22:23]
	v_fmac_f64_e32 v[20:21], v[24:25], v[18:19]
	v_fma_f64 v[22:23], -v[20:21], v[20:21], v[2:3]
	v_fmac_f64_e32 v[20:21], v[22:23], v[18:19]
	v_ldexp_f64 v[18:19], v[20:21], v15
	v_mov_b32_e32 v15, 0x260
	s_mov_b32 s7, 0x3fe98845
	v_cmp_class_f64_e32 vcc, v[2:3], v15
	v_mul_f64 v[10:11], v[10:11], s[6:7]
	v_cndmask_b32_e32 v3, v19, v3, vcc
	v_cndmask_b32_e32 v2, v18, v2, vcc
	v_div_scale_f64 v[18:19], s[6:7], v[2:3], v[2:3], v[10:11]
	v_rcp_f64_e32 v[20:21], v[18:19]
	v_fma_f64 v[22:23], -v[18:19], v[20:21], 1.0
	v_fmac_f64_e32 v[20:21], v[20:21], v[22:23]
	v_fma_f64 v[22:23], -v[18:19], v[20:21], 1.0
	v_fmac_f64_e32 v[20:21], v[20:21], v[22:23]
	v_div_scale_f64 v[22:23], vcc, v[10:11], v[2:3], v[10:11]
	v_mul_f64 v[24:25], v[22:23], v[20:21]
	v_fma_f64 v[18:19], -v[18:19], v[24:25], v[22:23]
	s_nop 1
	v_div_fmas_f64 v[18:19], v[18:19], v[20:21], v[24:25]
	v_div_fixup_f64 v[10:11], v[18:19], v[2:3], v[10:11]
.LBB0_61:
	s_or_b64 exec, exec, s[10:11]
.LBB0_62:
	s_or_b64 exec, exec, s[8:9]
	v_add_u32_e32 v2, 0x300, v5
	v_cmp_lt_i32_e32 vcc, v2, v4
	s_and_saveexec_b64 s[8:9], vcc
	s_cbranch_execz .LBB0_72
; %bb.63:
	s_waitcnt vmcnt(0) lgkmcnt(0)
	v_xor_b32_e32 v2, 0x80000000, v17
	v_cmp_gt_f64_e32 vcc, 0, v[16:17]
	s_mov_b32 s6, 0
	v_cndmask_b32_e32 v3, v17, v2, vcc
	v_cndmask_b32_e32 v2, v16, v16, vcc
	s_mov_b32 s7, 0x40140000
	v_cmp_ge_f64_e32 vcc, s[6:7], v[2:3]
	v_mul_f64 v[16:17], v[2:3], v[2:3]
	s_and_saveexec_b64 s[6:7], vcc
	s_xor_b64 s[6:7], exec, s[6:7]
	s_cbranch_execz .LBB0_69
; %bb.64:
	s_mov_b32 s10, 0x88e368f1
	s_mov_b32 s11, 0x3ee4f8b5
	v_cmp_ngt_f64_e32 vcc, s[10:11], v[2:3]
	s_and_saveexec_b64 s[10:11], vcc
	s_xor_b64 s[10:11], exec, s[10:11]
	s_cbranch_execz .LBB0_66
; %bb.65:
	v_mov_b32_e32 v2, 0xad1c8325
	v_mov_b32_e32 v3, 0xc1f1dc53
	v_fmac_f64_e32 v[2:3], 0, v[16:17]
	v_mov_b32_e32 v12, 0xc772990d
	v_mov_b32_e32 v13, 0x427c7751
	v_fmac_f64_e32 v[12:13], v[16:17], v[2:3]
	;; [unrolled: 3-line block ×10, first 2 shown]
	v_mov_b32_e32 v18, 0xc7b662cc
	v_mov_b32_e32 v19, 0x43b7be34
	s_mov_b32 s12, 0x80462bbb
	v_fmac_f64_e32 v[18:19], v[16:17], v[12:13]
	v_mov_b32_e32 v12, 0x69ff5fb4
	v_mov_b32_e32 v13, 0x43413ef8
	s_mov_b32 s13, 0xc01721fb
	v_fmac_f64_e32 v[12:13], v[16:17], v[2:3]
	v_add_f64 v[2:3], v[16:17], s[12:13]
	s_mov_b32 s12, 0xa621dd6f
	s_mov_b32 s13, 0xc03e78a4
	v_add_f64 v[16:17], v[16:17], s[12:13]
	v_mul_f64 v[2:3], v[2:3], v[16:17]
	v_mul_f64 v[2:3], v[2:3], v[12:13]
	v_div_scale_f64 v[12:13], s[12:13], v[18:19], v[18:19], v[2:3]
	v_rcp_f64_e32 v[16:17], v[12:13]
	v_fma_f64 v[20:21], -v[12:13], v[16:17], 1.0
	v_fmac_f64_e32 v[16:17], v[16:17], v[20:21]
	v_fma_f64 v[20:21], -v[12:13], v[16:17], 1.0
	v_fmac_f64_e32 v[16:17], v[16:17], v[20:21]
	v_div_scale_f64 v[20:21], vcc, v[2:3], v[18:19], v[2:3]
	v_mul_f64 v[22:23], v[20:21], v[16:17]
	v_fma_f64 v[12:13], -v[12:13], v[22:23], v[20:21]
	s_nop 1
	v_div_fmas_f64 v[12:13], v[12:13], v[16:17], v[22:23]
	v_div_fixup_f64 v[12:13], v[12:13], v[18:19], v[2:3]
                                        ; implicit-def: $vgpr16_vgpr17
.LBB0_66:
	s_andn2_saveexec_b64 s[10:11], s[10:11]
; %bb.67:
	s_mov_b32 s12, 0
	s_mov_b32 s13, 0xbfd00000
	v_fma_f64 v[12:13], v[16:17], s[12:13], 1.0
; %bb.68:
	s_or_b64 exec, exec, s[10:11]
                                        ; implicit-def: $vgpr16_vgpr17
                                        ; implicit-def: $vgpr2_vgpr3
.LBB0_69:
	s_andn2_saveexec_b64 s[10:11], s[6:7]
	s_cbranch_execz .LBB0_83
; %bb.70:
	s_mov_b32 s15, 0xbfe921fb
	s_mov_b32 s14, 0x54442d18
	s_mov_b32 s6, 0
	v_add_f64 v[12:13], v[2:3], s[14:15]
	s_mov_b32 s7, 0x41d00000
	v_cmp_nlt_f64_e64 s[12:13], |v[12:13]|, s[6:7]
	v_trig_preop_f64 v[30:31], |v[12:13]|, 0
	v_trig_preop_f64 v[28:29], |v[12:13]|, 1
	;; [unrolled: 1-line block ×3, first 2 shown]
                                        ; implicit-def: $vgpr15
                                        ; implicit-def: $vgpr18_vgpr19
                                        ; implicit-def: $vgpr20_vgpr21
	s_and_saveexec_b64 s[6:7], s[12:13]
	s_xor_b64 s[16:17], exec, s[6:7]
	s_cbranch_execz .LBB0_76
; %bb.71:
	s_mov_b32 s6, 0
	s_mov_b32 s7, 0x7b000000
	s_movk_i32 s15, 0xff80
	v_and_b32_e32 v15, 0x7fffffff, v13
	v_ldexp_f64 v[18:19], |v[12:13]|, s15
	v_cmp_ge_f64_e64 vcc, |v[12:13]|, s[6:7]
	v_cndmask_b32_e32 v19, v15, v19, vcc
	v_cndmask_b32_e32 v18, v12, v18, vcc
	v_mul_f64 v[22:23], v[30:31], v[18:19]
	v_mul_f64 v[20:21], v[28:29], v[18:19]
	v_fma_f64 v[24:25], v[30:31], v[18:19], -v[22:23]
	v_add_f64 v[32:33], v[20:21], v[24:25]
	v_add_f64 v[34:35], v[22:23], v[32:33]
	s_mov_b32 s6, 0
	v_ldexp_f64 v[38:39], v[34:35], -2
	s_mov_b32 s7, 0x7ff00000
	v_fract_f64_e32 v[48:49], v[38:39]
	v_cmp_neq_f64_e64 vcc, |v[38:39]|, s[6:7]
	v_cndmask_b32_e32 v39, 0, v49, vcc
	v_cndmask_b32_e32 v38, 0, v48, vcc
	v_add_f64 v[48:49], v[32:33], -v[20:21]
	v_add_f64 v[24:25], v[24:25], -v[48:49]
	;; [unrolled: 1-line block ×4, first 2 shown]
	v_add_f64 v[24:25], v[24:25], v[48:49]
	v_fma_f64 v[20:21], v[28:29], v[18:19], -v[20:21]
	v_mul_f64 v[48:49], v[26:27], v[18:19]
	v_add_f64 v[52:53], v[48:49], v[20:21]
	v_add_f64 v[54:55], v[52:53], v[24:25]
	v_add_f64 v[22:23], v[34:35], -v[22:23]
	v_add_f64 v[34:35], v[54:55], -v[52:53]
	;; [unrolled: 1-line block ×5, first 2 shown]
	v_add_f64 v[24:25], v[24:25], v[34:35]
	v_add_f64 v[34:35], v[52:53], -v[48:49]
	v_add_f64 v[20:21], v[20:21], -v[34:35]
	;; [unrolled: 1-line block ×5, first 2 shown]
	v_add_f64 v[32:33], v[22:23], v[54:55]
	v_add_f64 v[20:21], v[20:21], v[34:35]
	v_add_f64 v[22:23], v[32:33], -v[22:23]
	v_add_f64 v[20:21], v[20:21], v[24:25]
	v_fma_f64 v[18:19], v[26:27], v[18:19], -v[48:49]
	v_add_f64 v[22:23], v[54:55], -v[22:23]
	v_add_f64 v[18:19], v[18:19], v[20:21]
	v_ldexp_f64 v[20:21], v[38:39], 2
	v_add_f64 v[18:19], v[22:23], v[18:19]
	v_add_f64 v[22:23], v[32:33], v[20:21]
	v_mov_b32_e32 v15, 0x40100000
	v_cmp_gt_f64_e32 vcc, 0, v[22:23]
	v_mov_b32_e32 v50, 0
	v_cndmask_b32_e32 v51, 0, v15, vcc
	v_add_f64 v[20:21], v[20:21], v[50:51]
	v_add_f64 v[22:23], v[32:33], v[20:21]
	v_cvt_i32_f64_e32 v15, v[22:23]
	v_cvt_f64_i32_e32 v[22:23], v15
	v_add_f64 v[20:21], v[20:21], -v[22:23]
	v_add_f64 v[22:23], v[32:33], v[20:21]
	v_add_f64 v[20:21], v[22:23], -v[20:21]
	v_add_f64 v[20:21], v[32:33], -v[20:21]
	v_add_f64 v[18:19], v[18:19], v[20:21]
	v_cmp_le_f64_e32 vcc, 0.5, v[22:23]
	v_mov_b32_e32 v20, 0x3ff00000
	v_cndmask_b32_e32 v51, 0, v20, vcc
	v_add_f64 v[20:21], v[22:23], -v[50:51]
	v_add_f64 v[22:23], v[20:21], v[18:19]
	v_addc_co_u32_e64 v15, s[6:7], 0, v15, vcc
	v_add_f64 v[20:21], v[22:23], -v[20:21]
	s_mov_b32 s15, 0x3ff921fb
	v_add_f64 v[18:19], v[18:19], -v[20:21]
	v_mul_f64 v[20:21], v[22:23], s[14:15]
	s_mov_b32 s6, 0x33145c07
	v_fma_f64 v[24:25], v[22:23], s[14:15], -v[20:21]
	s_mov_b32 s7, 0x3c91a626
	v_fmac_f64_e32 v[24:25], s[6:7], v[22:23]
	v_fmac_f64_e32 v[24:25], s[14:15], v[18:19]
	v_add_f64 v[18:19], v[20:21], v[24:25]
	v_add_f64 v[20:21], v[18:19], -v[20:21]
	v_add_f64 v[20:21], v[24:25], -v[20:21]
	s_andn2_saveexec_b64 s[6:7], s[16:17]
	s_cbranch_execz .LBB0_78
	s_branch .LBB0_77
.LBB0_72:
	s_or_b64 exec, exec, s[8:9]
	s_and_saveexec_b64 s[6:7], s[4:5]
	s_xor_b64 s[4:5], exec, s[6:7]
	s_cbranch_execz .LBB0_84
.LBB0_73:
	v_mov_b32_e32 v15, 0
	v_lshlrev_b64 v[2:3], 3, v[14:15]
	v_add_co_u32_e32 v2, vcc, v0, v2
	v_addc_co_u32_e32 v3, vcc, v1, v3, vcc
	v_mov_b32_e32 v5, v36
	flat_store_dwordx2 v[2:3], v[6:7]
	s_or_b64 exec, exec, s[4:5]
	v_cmp_lt_i32_e32 vcc, v5, v4
	s_and_saveexec_b64 s[4:5], vcc
	s_cbranch_execnz .LBB0_85
.LBB0_74:
	s_or_b64 exec, exec, s[4:5]
	v_cmp_lt_i32_e32 vcc, v5, v4
	s_and_saveexec_b64 s[4:5], vcc
	s_cbranch_execz .LBB0_86
.LBB0_75:
	v_add_u32_e32 v2, s26, v5
	v_mov_b32_e32 v3, 0
	v_lshlrev_b64 v[2:3], 3, v[2:3]
	v_add_co_u32_e32 v2, vcc, v0, v2
	v_addc_co_u32_e32 v3, vcc, v1, v3, vcc
	v_add_u32_e32 v5, 0x100, v5
	flat_store_dwordx2 v[2:3], v[10:11]
	s_or_b64 exec, exec, s[4:5]
	v_cmp_lt_i32_e32 vcc, v5, v4
	s_and_saveexec_b64 s[4:5], vcc
	s_cbranch_execnz .LBB0_87
	s_branch .LBB0_88
.LBB0_76:
	s_andn2_saveexec_b64 s[6:7], s[16:17]
	s_cbranch_execz .LBB0_78
.LBB0_77:
	s_mov_b32 s14, 0x6dc9c883
	s_mov_b32 s15, 0x3fe45f30
	v_mul_f64 v[18:19], |v[12:13]|, s[14:15]
	s_mov_b32 s14, 0x54442d18
	v_rndne_f64_e32 v[22:23], v[18:19]
	s_mov_b32 s15, 0xbff921fb
	v_fma_f64 v[18:19], v[22:23], s[14:15], |v[12:13]|
	s_mov_b32 s15, 0xbc91a626
	s_mov_b32 s14, 0x33145c00
	v_mul_f64 v[24:25], v[22:23], s[14:15]
	v_add_f64 v[34:35], v[18:19], v[24:25]
	v_fma_f64 v[20:21], s[14:15], v[22:23], v[18:19]
	s_mov_b32 s15, 0x3c91a626
	v_add_f64 v[18:19], v[18:19], -v[34:35]
	v_fma_f64 v[32:33], s[14:15], v[22:23], v[24:25]
	v_add_f64 v[18:19], v[18:19], v[24:25]
	v_add_f64 v[24:25], v[34:35], -v[20:21]
	v_add_f64 v[18:19], v[24:25], v[18:19]
	s_mov_b32 s14, 0x252049c0
	v_add_f64 v[24:25], v[18:19], -v[32:33]
	s_mov_b32 s15, 0xb97b839a
	v_fmac_f64_e32 v[24:25], s[14:15], v[22:23]
	v_add_f64 v[18:19], v[20:21], v[24:25]
	v_add_f64 v[20:21], v[18:19], -v[20:21]
	v_add_f64 v[20:21], v[24:25], -v[20:21]
	v_cvt_i32_f64_e32 v15, v[22:23]
.LBB0_78:
	s_or_b64 exec, exec, s[6:7]
                                        ; implicit-def: $vgpr32
                                        ; implicit-def: $vgpr22_vgpr23
                                        ; implicit-def: $vgpr24_vgpr25
	s_and_saveexec_b64 s[6:7], s[12:13]
	s_xor_b64 s[12:13], exec, s[6:7]
	s_cbranch_execz .LBB0_80
; %bb.79:
	s_mov_b32 s6, 0
	s_mov_b32 s7, 0x7b000000
	s_movk_i32 s14, 0xff80
	v_and_b32_e32 v24, 0x7fffffff, v13
	v_ldexp_f64 v[22:23], |v[12:13]|, s14
	v_cmp_ge_f64_e64 vcc, |v[12:13]|, s[6:7]
	v_cndmask_b32_e32 v23, v24, v23, vcc
	v_cndmask_b32_e32 v22, v12, v22, vcc
	v_mul_f64 v[32:33], v[30:31], v[22:23]
	v_mul_f64 v[24:25], v[28:29], v[22:23]
	v_fma_f64 v[30:31], v[30:31], v[22:23], -v[32:33]
	v_add_f64 v[34:35], v[24:25], v[30:31]
	v_add_f64 v[38:39], v[32:33], v[34:35]
	s_mov_b32 s6, 0
	v_ldexp_f64 v[48:49], v[38:39], -2
	s_mov_b32 s7, 0x7ff00000
	v_fract_f64_e32 v[50:51], v[48:49]
	v_cmp_neq_f64_e64 vcc, |v[48:49]|, s[6:7]
	v_cndmask_b32_e32 v49, 0, v51, vcc
	v_cndmask_b32_e32 v48, 0, v50, vcc
	v_add_f64 v[50:51], v[34:35], -v[24:25]
	v_add_f64 v[30:31], v[30:31], -v[50:51]
	;; [unrolled: 1-line block ×4, first 2 shown]
	v_fma_f64 v[24:25], v[28:29], v[22:23], -v[24:25]
	v_mul_f64 v[28:29], v[26:27], v[22:23]
	v_add_f64 v[30:31], v[30:31], v[50:51]
	v_add_f64 v[50:51], v[28:29], v[24:25]
	;; [unrolled: 1-line block ×3, first 2 shown]
	v_add_f64 v[32:33], v[38:39], -v[32:33]
	v_add_f64 v[38:39], v[54:55], -v[50:51]
	;; [unrolled: 1-line block ×5, first 2 shown]
	v_add_f64 v[30:31], v[30:31], v[38:39]
	v_add_f64 v[38:39], v[50:51], -v[28:29]
	v_add_f64 v[24:25], v[24:25], -v[38:39]
	;; [unrolled: 1-line block ×4, first 2 shown]
	v_add_f64 v[24:25], v[24:25], v[38:39]
	v_add_f64 v[32:33], v[34:35], -v[32:33]
	v_add_f64 v[24:25], v[24:25], v[30:31]
	v_fma_f64 v[22:23], v[26:27], v[22:23], -v[28:29]
	v_add_f64 v[34:35], v[32:33], v[54:55]
	v_add_f64 v[22:23], v[22:23], v[24:25]
	v_ldexp_f64 v[24:25], v[48:49], 2
	v_add_f64 v[26:27], v[34:35], v[24:25]
	v_mov_b32_e32 v28, 0x40100000
	v_cmp_gt_f64_e32 vcc, 0, v[26:27]
	v_mov_b32_e32 v52, 0
	v_cndmask_b32_e32 v53, 0, v28, vcc
	v_add_f64 v[24:25], v[24:25], v[52:53]
	v_add_f64 v[26:27], v[34:35], v[24:25]
	v_cvt_i32_f64_e32 v28, v[26:27]
	v_cvt_f64_i32_e32 v[26:27], v28
	v_add_f64 v[24:25], v[24:25], -v[26:27]
	v_add_f64 v[32:33], v[34:35], -v[32:33]
	v_add_f64 v[26:27], v[34:35], v[24:25]
	v_add_f64 v[32:33], v[54:55], -v[32:33]
	v_add_f64 v[24:25], v[26:27], -v[24:25]
	v_add_f64 v[22:23], v[32:33], v[22:23]
	v_add_f64 v[24:25], v[34:35], -v[24:25]
	v_add_f64 v[22:23], v[22:23], v[24:25]
	v_cmp_le_f64_e32 vcc, 0.5, v[26:27]
	v_mov_b32_e32 v24, 0x3ff00000
	v_cndmask_b32_e32 v53, 0, v24, vcc
	v_addc_co_u32_e64 v32, s[6:7], 0, v28, vcc
	v_add_f64 v[24:25], v[26:27], -v[52:53]
	v_add_f64 v[26:27], v[24:25], v[22:23]
	s_mov_b32 s6, 0x54442d18
	v_add_f64 v[24:25], v[26:27], -v[24:25]
	s_mov_b32 s7, 0x3ff921fb
	v_add_f64 v[22:23], v[22:23], -v[24:25]
	v_mul_f64 v[24:25], v[26:27], s[6:7]
	s_mov_b32 s14, 0x33145c07
	v_fma_f64 v[28:29], v[26:27], s[6:7], -v[24:25]
	s_mov_b32 s15, 0x3c91a626
	v_fmac_f64_e32 v[28:29], s[14:15], v[26:27]
	v_fmac_f64_e32 v[28:29], s[6:7], v[22:23]
	v_add_f64 v[22:23], v[24:25], v[28:29]
	v_add_f64 v[24:25], v[22:23], -v[24:25]
	v_add_f64 v[24:25], v[28:29], -v[24:25]
	s_andn2_saveexec_b64 s[6:7], s[12:13]
	s_cbranch_execnz .LBB0_81
	s_branch .LBB0_82
.LBB0_80:
	s_andn2_saveexec_b64 s[6:7], s[12:13]
	s_cbranch_execz .LBB0_82
.LBB0_81:
	s_mov_b32 s12, 0x6dc9c883
	s_mov_b32 s13, 0x3fe45f30
	v_mul_f64 v[22:23], |v[12:13]|, s[12:13]
	s_mov_b32 s12, 0x54442d18
	v_rndne_f64_e32 v[26:27], v[22:23]
	s_mov_b32 s13, 0xbff921fb
	v_fma_f64 v[22:23], v[26:27], s[12:13], |v[12:13]|
	s_mov_b32 s13, 0xbc91a626
	s_mov_b32 s12, 0x33145c00
	v_mul_f64 v[28:29], v[26:27], s[12:13]
	v_add_f64 v[32:33], v[22:23], v[28:29]
	v_fma_f64 v[24:25], s[12:13], v[26:27], v[22:23]
	s_mov_b32 s13, 0x3c91a626
	v_add_f64 v[22:23], v[22:23], -v[32:33]
	v_fma_f64 v[30:31], s[12:13], v[26:27], v[28:29]
	v_add_f64 v[22:23], v[22:23], v[28:29]
	v_add_f64 v[28:29], v[32:33], -v[24:25]
	v_add_f64 v[22:23], v[28:29], v[22:23]
	s_mov_b32 s12, 0x252049c0
	v_add_f64 v[28:29], v[22:23], -v[30:31]
	s_mov_b32 s13, 0xb97b839a
	v_fmac_f64_e32 v[28:29], s[12:13], v[26:27]
	v_add_f64 v[22:23], v[24:25], v[28:29]
	v_add_f64 v[24:25], v[22:23], -v[24:25]
	v_add_f64 v[24:25], v[28:29], -v[24:25]
	v_cvt_i32_f64_e32 v32, v[26:27]
.LBB0_82:
	s_or_b64 exec, exec, s[6:7]
	s_mov_b32 s6, 0
	s_mov_b32 s7, 0x40390000
	v_div_scale_f64 v[26:27], s[12:13], v[16:17], v[16:17], s[6:7]
	v_rcp_f64_e32 v[28:29], v[26:27]
	v_mov_b32_e32 v38, 0xb1759c7f
	v_mov_b32_e32 v39, 0x408ac370
	;; [unrolled: 1-line block ×3, first 2 shown]
	v_fma_f64 v[30:31], -v[26:27], v[28:29], 1.0
	v_fmac_f64_e32 v[28:29], v[28:29], v[30:31]
	v_fma_f64 v[30:31], -v[26:27], v[28:29], 1.0
	v_fmac_f64_e32 v[28:29], v[28:29], v[30:31]
	v_div_scale_f64 v[30:31], vcc, s[6:7], v[16:17], s[6:7]
	v_mul_f64 v[34:35], v[30:31], v[28:29]
	v_fma_f64 v[26:27], -v[26:27], v[34:35], v[30:31]
	v_mov_b32_e32 v30, 0xab5454e3
	s_nop 0
	v_div_fmas_f64 v[26:27], v[26:27], v[28:29], v[34:35]
	v_div_fixup_f64 v[16:17], v[26:27], v[16:17], s[6:7]
	v_mov_b32_e32 v26, 0x983b6b27
	v_mov_b32_e32 v27, 0x3f4a1d30
	v_fmac_f64_e32 v[26:27], 0, v[16:17]
	v_mov_b32_e32 v28, 0xb35dd1cf
	v_mov_b32_e32 v29, 0x3fb534b0
	v_fmac_f64_e32 v[28:29], v[16:17], v[26:27]
	;; [unrolled: 3-line block ×7, first 2 shown]
	v_mov_b32_e32 v31, 0x3fb5ebc5
	v_fmac_f64_e32 v[30:31], v[16:17], v[26:27]
	v_mov_b32_e32 v26, 0xc9b3069f
	v_mov_b32_e32 v27, 0x3ff40e72
	v_fmac_f64_e32 v[26:27], v[16:17], v[30:31]
	v_mov_b32_e32 v30, 0xe68162bb
	;; [unrolled: 3-line block ×4, first 2 shown]
	v_mov_b32_e32 v31, 0x40153965
	v_fmac_f64_e32 v[30:31], v[16:17], v[26:27]
	v_fma_f64 v[26:27], v[16:17], v[30:31], 1.0
	v_mov_b32_e32 v30, 0x38a5384a
	v_mov_b32_e32 v31, 0xbf874742
	v_fmac_f64_e32 v[30:31], 0, v[16:17]
	v_mov_b32_e32 v34, 0x3a321174
	v_mov_b32_e32 v35, 0xbff4853b
	v_fmac_f64_e32 v[34:35], v[16:17], v[30:31]
	;; [unrolled: 3-line block ×9, first 2 shown]
	v_fmac_f64_e32 v[38:39], v[16:17], v[30:31]
	v_mov_b32_e32 v30, 0xbd748cb5
	v_mov_b32_e32 v31, 0x40ae54cd
	v_fmac_f64_e32 v[30:31], v[16:17], v[38:39]
	v_mov_b32_e32 v38, 0xbdefd63e
	v_mov_b32_e32 v39, 0x40bc4877
	;; [unrolled: 3-line block ×4, first 2 shown]
	v_fma_f64 v[28:29], v[16:17], v[28:29], 1.0
	v_fmac_f64_e32 v[38:39], v[16:17], v[30:31]
	v_div_scale_f64 v[30:31], s[6:7], v[26:27], v[26:27], v[28:29]
	v_rcp_f64_e32 v[48:49], v[30:31]
	v_mov_b32_e32 v51, 0x406e402f
	v_fmac_f64_e32 v[50:51], v[16:17], v[38:39]
	s_mov_b32 s6, 0x9037ab78
	v_fma_f64 v[16:17], -v[30:31], v[48:49], 1.0
	v_fmac_f64_e32 v[48:49], v[48:49], v[16:17]
	v_fma_f64 v[16:17], -v[30:31], v[48:49], 1.0
	v_fmac_f64_e32 v[48:49], v[48:49], v[16:17]
	v_div_scale_f64 v[16:17], vcc, v[28:29], v[26:27], v[28:29]
	v_mul_f64 v[38:39], v[16:17], v[48:49]
	v_fma_f64 v[16:17], -v[30:31], v[38:39], v[16:17]
	s_mov_b32 s7, 0x3e21eeb6
	s_nop 0
	v_div_fmas_f64 v[16:17], v[16:17], v[48:49], v[38:39]
	s_mov_b32 s12, 0x46cc5e42
	v_div_fixup_f64 v[16:17], v[16:17], v[26:27], v[28:29]
	v_mul_f64 v[26:27], v[18:19], v[18:19]
	s_mov_b32 s13, 0xbda907db
	v_pk_mov_b32 v[48:49], s[6:7], s[6:7] op_sel:[0,1]
	s_mov_b32 s14, 0xa17f65f6
	v_mul_f64 v[28:29], v[26:27], 0.5
	v_fma_f64 v[52:53], s[12:13], v[26:27], v[48:49]
	s_mov_b32 s15, 0xbe927e4f
	s_mov_b32 s16, 0x19f4ec90
	v_add_f64 v[30:31], -v[28:29], 1.0
	v_fma_f64 v[52:53], v[26:27], v[52:53], s[14:15]
	s_mov_b32 s17, 0x3efa01a0
	s_mov_b32 s18, 0x16c16967
	v_add_f64 v[38:39], -v[30:31], 1.0
	v_fma_f64 v[52:53], v[26:27], v[52:53], s[16:17]
	s_mov_b32 s19, 0xbf56c16c
	s_mov_b32 s20, 0x55555555
	v_add_f64 v[28:29], v[38:39], -v[28:29]
	v_fma_f64 v[52:53], v[26:27], v[52:53], s[18:19]
	s_mov_b32 s21, 0x3fa55555
	v_mul_f64 v[38:39], v[26:27], v[26:27]
	v_fma_f64 v[52:53], v[26:27], v[52:53], s[20:21]
	v_fma_f64 v[28:29], v[18:19], -v[20:21], v[28:29]
	s_mov_b32 s6, 0xb42fdfa7
	v_fmac_f64_e32 v[28:29], v[38:39], v[52:53]
	s_mov_b32 s7, 0xbe5ae600
	s_mov_b32 s22, 0xf9a43bb8
	v_add_f64 v[28:29], v[30:31], v[28:29]
	s_mov_b32 s23, 0x3de5e0b2
	v_pk_mov_b32 v[30:31], s[6:7], s[6:7] op_sel:[0,1]
	s_mov_b32 s24, 0x796cde01
	v_fma_f64 v[38:39], s[22:23], v[26:27], v[30:31]
	s_mov_b32 s25, 0x3ec71de3
	s_mov_b32 s28, 0x19e83e5c
	v_fma_f64 v[38:39], v[26:27], v[38:39], s[24:25]
	s_mov_b32 s29, 0xbf2a01a0
	;; [unrolled: 3-line block ×3, first 2 shown]
	v_fma_f64 v[38:39], v[26:27], v[38:39], s[30:31]
	v_mul_f64 v[52:53], v[18:19], -v[26:27]
	v_mul_f64 v[54:55], v[20:21], 0.5
	v_fmac_f64_e32 v[54:55], v[52:53], v[38:39]
	v_fma_f64 v[20:21], v[26:27], v[54:55], -v[20:21]
	s_mov_b32 s35, 0xbfc55555
	s_mov_b32 s34, s20
	v_fmac_f64_e32 v[20:21], s[34:35], v[52:53]
	v_add_f64 v[18:19], v[18:19], -v[20:21]
	v_and_b32_e32 v20, 1, v15
	v_xor_b32_e32 v19, 0x80000000, v19
	v_cmp_eq_u32_e32 vcc, 0, v20
	v_lshlrev_b32_e32 v15, 30, v15
	s_mov_b32 s36, 0
	v_cndmask_b32_e32 v26, v18, v28, vcc
	v_cndmask_b32_e32 v18, v19, v29, vcc
	v_and_b32_e32 v15, 0x80000000, v15
	s_mov_b32 s37, 0xc0140000
	v_xor_b32_e32 v15, v18, v15
	v_div_scale_f64 v[18:19], s[6:7], v[2:3], v[2:3], s[36:37]
	v_rcp_f64_e32 v[20:21], v[18:19]
	s_movk_i32 s27, 0x1f8
	v_cmp_class_f64_e64 s[6:7], v[12:13], s27
	v_and_b32_e32 v12, 1, v32
	v_fma_f64 v[28:29], -v[18:19], v[20:21], 1.0
	v_fmac_f64_e32 v[20:21], v[20:21], v[28:29]
	v_fma_f64 v[28:29], -v[18:19], v[20:21], 1.0
	v_fmac_f64_e32 v[20:21], v[20:21], v[28:29]
	v_div_scale_f64 v[28:29], vcc, s[36:37], v[2:3], s[36:37]
	v_mul_f64 v[38:39], v[28:29], v[20:21]
	v_fma_f64 v[18:19], -v[18:19], v[38:39], v[28:29]
	v_div_scale_f64 v[28:29], s[38:39], v[50:51], v[50:51], v[34:35]
	v_rcp_f64_e32 v[52:53], v[28:29]
	v_div_fmas_f64 v[18:19], v[18:19], v[20:21], v[38:39]
	v_div_fixup_f64 v[18:19], v[18:19], v[2:3], s[36:37]
	v_mov_b32_e32 v33, 0x7ff80000
	v_fma_f64 v[20:21], -v[28:29], v[52:53], 1.0
	v_fmac_f64_e32 v[52:53], v[52:53], v[20:21]
	v_fma_f64 v[20:21], -v[28:29], v[52:53], 1.0
	v_fmac_f64_e32 v[52:53], v[52:53], v[20:21]
	v_div_scale_f64 v[20:21], vcc, v[34:35], v[50:51], v[34:35]
	v_mul_f64 v[38:39], v[20:21], v[52:53]
	v_fma_f64 v[20:21], -v[28:29], v[38:39], v[20:21]
	v_cndmask_b32_e64 v27, v33, v15, s[6:7]
	s_nop 0
	v_div_fmas_f64 v[20:21], v[20:21], v[52:53], v[38:39]
	v_div_fixup_f64 v[20:21], v[20:21], v[50:51], v[34:35]
	v_mul_f64 v[18:19], v[18:19], v[20:21]
	v_mul_f64 v[20:21], v[22:23], v[22:23]
	v_mul_f64 v[28:29], v[20:21], 0.5
	v_fmac_f64_e32 v[48:49], s[12:13], v[20:21]
	v_add_f64 v[34:35], -v[28:29], 1.0
	v_fma_f64 v[48:49], v[20:21], v[48:49], s[14:15]
	v_add_f64 v[38:39], -v[34:35], 1.0
	v_fma_f64 v[48:49], v[20:21], v[48:49], s[16:17]
	v_add_f64 v[28:29], v[38:39], -v[28:29]
	v_fma_f64 v[48:49], v[20:21], v[48:49], s[18:19]
	v_fmac_f64_e32 v[30:31], s[22:23], v[20:21]
	v_mul_f64 v[38:39], v[20:21], v[20:21]
	v_fma_f64 v[48:49], v[20:21], v[48:49], s[20:21]
	v_fma_f64 v[28:29], v[22:23], -v[24:25], v[28:29]
	v_fma_f64 v[30:31], v[20:21], v[30:31], s[24:25]
	v_fmac_f64_e32 v[28:29], v[38:39], v[48:49]
	v_fma_f64 v[30:31], v[20:21], v[30:31], s[28:29]
	v_add_f64 v[28:29], v[34:35], v[28:29]
	v_fma_f64 v[30:31], v[20:21], v[30:31], s[30:31]
	v_mul_f64 v[34:35], v[22:23], -v[20:21]
	v_mul_f64 v[38:39], v[24:25], 0.5
	v_fmac_f64_e32 v[38:39], v[34:35], v[30:31]
	v_fma_f64 v[20:21], v[20:21], v[38:39], -v[24:25]
	v_fmac_f64_e32 v[20:21], s[34:35], v[34:35]
	v_add_f64 v[20:21], v[22:23], -v[20:21]
	v_cmp_eq_u32_e32 vcc, 0, v12
	v_cndmask_b32_e32 v12, v28, v20, vcc
	v_lshlrev_b32_e32 v20, 30, v32
	v_xor_b32_e32 v13, v20, v13
	v_cndmask_b32_e32 v15, v29, v21, vcc
	v_and_b32_e32 v13, 0x80000000, v13
	v_xor_b32_e32 v13, v15, v13
	v_cndmask_b32_e64 v26, 0, v26, s[6:7]
	v_cndmask_b32_e64 v12, 0, v12, s[6:7]
	;; [unrolled: 1-line block ×3, first 2 shown]
	s_mov_b32 s6, 0
	s_brev_b32 s7, 8
	v_cmp_gt_f64_e32 vcc, s[6:7], v[2:3]
	v_cndmask_b32_e64 v15, 0, 1, vcc
	v_lshlrev_b32_e32 v15, 8, v15
	v_mul_f64 v[12:13], v[18:19], v[12:13]
	v_ldexp_f64 v[2:3], v[2:3], v15
	v_fmac_f64_e32 v[12:13], v[16:17], v[26:27]
	v_rsq_f64_e32 v[16:17], v[2:3]
	v_mov_b32_e32 v15, 0xffffff80
	v_cndmask_b32_e32 v15, 0, v15, vcc
	s_mov_b32 s6, 0x33d43651
	v_mul_f64 v[18:19], v[2:3], v[16:17]
	v_mul_f64 v[16:17], v[16:17], 0.5
	v_fma_f64 v[20:21], -v[16:17], v[18:19], 0.5
	v_fmac_f64_e32 v[18:19], v[18:19], v[20:21]
	v_fma_f64 v[22:23], -v[18:19], v[18:19], v[2:3]
	v_fmac_f64_e32 v[16:17], v[16:17], v[20:21]
	v_fmac_f64_e32 v[18:19], v[22:23], v[16:17]
	v_fma_f64 v[20:21], -v[18:19], v[18:19], v[2:3]
	v_fmac_f64_e32 v[18:19], v[20:21], v[16:17]
	v_ldexp_f64 v[16:17], v[18:19], v15
	v_mov_b32_e32 v15, 0x260
	s_mov_b32 s7, 0x3fe98845
	v_cmp_class_f64_e32 vcc, v[2:3], v15
	v_mul_f64 v[12:13], v[12:13], s[6:7]
	v_cndmask_b32_e32 v3, v17, v3, vcc
	v_cndmask_b32_e32 v2, v16, v2, vcc
	v_div_scale_f64 v[16:17], s[6:7], v[2:3], v[2:3], v[12:13]
	v_rcp_f64_e32 v[18:19], v[16:17]
	v_fma_f64 v[20:21], -v[16:17], v[18:19], 1.0
	v_fmac_f64_e32 v[18:19], v[18:19], v[20:21]
	v_fma_f64 v[20:21], -v[16:17], v[18:19], 1.0
	v_fmac_f64_e32 v[18:19], v[18:19], v[20:21]
	v_div_scale_f64 v[20:21], vcc, v[12:13], v[2:3], v[12:13]
	v_mul_f64 v[22:23], v[20:21], v[18:19]
	v_fma_f64 v[16:17], -v[16:17], v[22:23], v[20:21]
	s_nop 1
	v_div_fmas_f64 v[16:17], v[16:17], v[18:19], v[22:23]
	v_div_fixup_f64 v[12:13], v[16:17], v[2:3], v[12:13]
.LBB0_83:
	s_or_b64 exec, exec, s[10:11]
	s_or_b64 exec, exec, s[8:9]
	s_and_saveexec_b64 s[6:7], s[4:5]
	s_xor_b64 s[4:5], exec, s[6:7]
	s_cbranch_execnz .LBB0_73
.LBB0_84:
	s_or_b64 exec, exec, s[4:5]
	v_cmp_lt_i32_e32 vcc, v5, v4
	s_and_saveexec_b64 s[4:5], vcc
	s_cbranch_execz .LBB0_74
.LBB0_85:
	v_add_u32_e32 v2, s26, v5
	v_mov_b32_e32 v3, 0
	v_lshlrev_b64 v[2:3], 3, v[2:3]
	v_add_co_u32_e32 v2, vcc, v0, v2
	v_addc_co_u32_e32 v3, vcc, v1, v3, vcc
	v_add_u32_e32 v5, 0x100, v5
	flat_store_dwordx2 v[2:3], v[8:9]
	s_or_b64 exec, exec, s[4:5]
	v_cmp_lt_i32_e32 vcc, v5, v4
	s_and_saveexec_b64 s[4:5], vcc
	s_cbranch_execnz .LBB0_75
.LBB0_86:
	s_or_b64 exec, exec, s[4:5]
	v_cmp_lt_i32_e32 vcc, v5, v4
	s_and_saveexec_b64 s[4:5], vcc
	s_cbranch_execz .LBB0_88
.LBB0_87:
	v_add_u32_e32 v2, s26, v5
	v_mov_b32_e32 v3, 0
	v_lshlrev_b64 v[2:3], 3, v[2:3]
	v_add_co_u32_e32 v0, vcc, v0, v2
	v_addc_co_u32_e32 v1, vcc, v1, v3, vcc
	flat_store_dwordx2 v[0:1], v[12:13]
.LBB0_88:
	s_or_b64 exec, exec, s[4:5]
	v_readlane_b32 s30, v40, 6
	v_readlane_b32 s31, v40, 7
	;; [unrolled: 1-line block ×8, first 2 shown]
	s_or_saveexec_b64 s[4:5], -1
	buffer_load_dword v40, off, s[0:3], s32 ; 4-byte Folded Reload
	s_mov_b64 exec, s[4:5]
	s_waitcnt vmcnt(0) lgkmcnt(0)
	s_setpc_b64 s[30:31]
.Lfunc_end0:
	.size	_ZN2at6native25elementwise_kernel_helperILb0EZZZNS0_12_GLOBAL__N_121bessel_j0_kernel_cudaERNS_18TensorIteratorBaseEENKUlvE_clEvENKUlvE_clEvEUldE_NS0_6memory8policies11unroll_baseILi256ESt5arrayIPcLm2EE23TrivialOffsetCalculatorILi1EjESF_NS8_15LoadWithoutCastENS8_16StoreWithoutCastELi4ELi1EEEEEvT0_T1_, .Lfunc_end0-_ZN2at6native25elementwise_kernel_helperILb0EZZZNS0_12_GLOBAL__N_121bessel_j0_kernel_cudaERNS_18TensorIteratorBaseEENKUlvE_clEvENKUlvE_clEvEUldE_NS0_6memory8policies11unroll_baseILi256ESt5arrayIPcLm2EE23TrivialOffsetCalculatorILi1EjESF_NS8_15LoadWithoutCastENS8_16StoreWithoutCastELi4ELi1EEEEEvT0_T1_
                                        ; -- End function
	.section	.AMDGPU.csdata,"",@progbits
; Function info:
; codeLenInByte = 17040
; NumSgprs: 44
; NumVgprs: 68
; NumAgprs: 0
; TotalNumVgprs: 68
; ScratchSize: 8
; MemoryBound: 0
	.text
	.p2align	2                               ; -- Begin function _ZN2at6native25elementwise_kernel_helperILb0EZZZNS0_12_GLOBAL__N_121bessel_j0_kernel_cudaERNS_18TensorIteratorBaseEENKUlvE_clEvENKUlvE_clEvEUldE_NS0_6memory8policies10vectorizedILi4ESt5arrayIPcLm2EELi4EEEEEvT0_T1_
	.type	_ZN2at6native25elementwise_kernel_helperILb0EZZZNS0_12_GLOBAL__N_121bessel_j0_kernel_cudaERNS_18TensorIteratorBaseEENKUlvE_clEvENKUlvE_clEvEUldE_NS0_6memory8policies10vectorizedILi4ESt5arrayIPcLm2EELi4EEEEEvT0_T1_,@function
_ZN2at6native25elementwise_kernel_helperILb0EZZZNS0_12_GLOBAL__N_121bessel_j0_kernel_cudaERNS_18TensorIteratorBaseEENKUlvE_clEvENKUlvE_clEvEUldE_NS0_6memory8policies10vectorizedILi4ESt5arrayIPcLm2EELi4EEEEEvT0_T1_: ; @_ZN2at6native25elementwise_kernel_helperILb0EZZZNS0_12_GLOBAL__N_121bessel_j0_kernel_cudaERNS_18TensorIteratorBaseEENKUlvE_clEvENKUlvE_clEvEUldE_NS0_6memory8policies10vectorizedILi4ESt5arrayIPcLm2EELi4EEEEEvT0_T1_
; %bb.0:
	s_waitcnt vmcnt(0) expcnt(0) lgkmcnt(0)
	s_or_saveexec_b64 s[4:5], -1
	buffer_store_dword v40, off, s[0:3], s32 ; 4-byte Folded Spill
	s_mov_b64 exec, s[4:5]
	v_writelane_b32 v40, s34, 0
	v_writelane_b32 v40, s35, 1
	;; [unrolled: 1-line block ×4, first 2 shown]
	s_lshl_b32 s4, s12, 10
	s_ashr_i32 s5, s4, 31
	s_lshl_b64 s[6:7], s[4:5], 3
	v_mov_b32_e32 v4, s7
	v_add_co_u32_e32 v2, vcc, s6, v2
	v_addc_co_u32_e32 v3, vcc, v3, v4, vcc
	v_and_b32_e32 v4, 0x3ff, v31
	v_lshlrev_b32_e32 v28, 5, v4
	v_add_co_u32_e32 v6, vcc, v2, v28
	v_addc_co_u32_e32 v7, vcc, 0, v3, vcc
	flat_load_dwordx4 v[8:11], v[6:7]
	flat_load_dwordx4 v[2:5], v[6:7] offset:16
	s_mov_b32 s4, 0
	s_mov_b32 s5, 0x40140000
	s_waitcnt vmcnt(0) lgkmcnt(0)
	v_xor_b32_e32 v6, 0x80000000, v9
	v_cmp_gt_f64_e32 vcc, 0, v[8:9]
	v_cndmask_b32_e32 v9, v9, v6, vcc
	v_cmp_ge_f64_e32 vcc, s[4:5], v[8:9]
	v_mul_f64 v[12:13], v[8:9], v[8:9]
                                        ; implicit-def: $vgpr6_vgpr7
	s_and_saveexec_b64 s[4:5], vcc
	s_xor_b64 s[4:5], exec, s[4:5]
	s_cbranch_execz .LBB1_6
; %bb.1:
	s_mov_b32 s8, 0x88e368f1
	s_mov_b32 s9, 0x3ee4f8b5
	v_cmp_ngt_f64_e32 vcc, s[8:9], v[8:9]
                                        ; implicit-def: $vgpr6_vgpr7
	s_and_saveexec_b64 s[8:9], vcc
	s_xor_b64 s[8:9], exec, s[8:9]
	s_cbranch_execz .LBB1_3
; %bb.2:
	v_mov_b32_e32 v6, 0xad1c8325
	v_mov_b32_e32 v7, 0xc1f1dc53
	v_fmac_f64_e32 v[6:7], 0, v[12:13]
	v_mov_b32_e32 v14, 0xc772990d
	v_mov_b32_e32 v15, 0x427c7751
	v_fmac_f64_e32 v[14:15], v[12:13], v[6:7]
	;; [unrolled: 3-line block ×10, first 2 shown]
	v_mov_b32_e32 v16, 0xc7b662cc
	v_mov_b32_e32 v17, 0x43b7be34
	s_mov_b32 s10, 0x80462bbb
	v_fmac_f64_e32 v[16:17], v[12:13], v[14:15]
	v_mov_b32_e32 v14, 0x69ff5fb4
	v_mov_b32_e32 v15, 0x43413ef8
	s_mov_b32 s11, 0xc01721fb
	v_fmac_f64_e32 v[14:15], v[12:13], v[6:7]
	v_add_f64 v[6:7], v[12:13], s[10:11]
	s_mov_b32 s10, 0xa621dd6f
	s_mov_b32 s11, 0xc03e78a4
	v_add_f64 v[12:13], v[12:13], s[10:11]
	v_mul_f64 v[6:7], v[6:7], v[12:13]
	v_mul_f64 v[6:7], v[6:7], v[14:15]
	v_div_scale_f64 v[12:13], s[10:11], v[16:17], v[16:17], v[6:7]
	v_rcp_f64_e32 v[14:15], v[12:13]
	v_fma_f64 v[18:19], -v[12:13], v[14:15], 1.0
	v_fmac_f64_e32 v[14:15], v[14:15], v[18:19]
	v_fma_f64 v[18:19], -v[12:13], v[14:15], 1.0
	v_fmac_f64_e32 v[14:15], v[14:15], v[18:19]
	v_div_scale_f64 v[18:19], vcc, v[6:7], v[16:17], v[6:7]
	v_mul_f64 v[20:21], v[18:19], v[14:15]
	v_fma_f64 v[12:13], -v[12:13], v[20:21], v[18:19]
	s_nop 1
	v_div_fmas_f64 v[12:13], v[12:13], v[14:15], v[20:21]
	v_div_fixup_f64 v[6:7], v[12:13], v[16:17], v[6:7]
                                        ; implicit-def: $vgpr12_vgpr13
.LBB1_3:
	s_andn2_saveexec_b64 s[8:9], s[8:9]
; %bb.4:
	s_mov_b32 s10, 0
	s_mov_b32 s11, 0xbfd00000
	v_fma_f64 v[6:7], v[12:13], s[10:11], 1.0
; %bb.5:
	s_or_b64 exec, exec, s[8:9]
                                        ; implicit-def: $vgpr12_vgpr13
.LBB1_6:
	s_andn2_saveexec_b64 s[8:9], s[4:5]
	s_cbranch_execz .LBB1_16
; %bb.7:
	s_mov_b32 s13, 0xbfe921fb
	s_mov_b32 s12, 0x54442d18
	;; [unrolled: 1-line block ×3, first 2 shown]
	v_add_f64 v[6:7], v[8:9], s[12:13]
	s_mov_b32 s5, 0x41d00000
	v_cmp_nlt_f64_e64 s[10:11], |v[6:7]|, s[4:5]
	v_trig_preop_f64 v[26:27], |v[6:7]|, 0
	v_trig_preop_f64 v[24:25], |v[6:7]|, 1
	;; [unrolled: 1-line block ×3, first 2 shown]
                                        ; implicit-def: $vgpr29
                                        ; implicit-def: $vgpr14_vgpr15
                                        ; implicit-def: $vgpr16_vgpr17
	s_and_saveexec_b64 s[4:5], s[10:11]
	s_xor_b64 s[14:15], exec, s[4:5]
	s_cbranch_execz .LBB1_9
; %bb.8:
	s_mov_b32 s4, 0
	s_mov_b32 s5, 0x7b000000
	s_movk_i32 s13, 0xff80
	v_and_b32_e32 v16, 0x7fffffff, v7
	v_ldexp_f64 v[14:15], |v[6:7]|, s13
	v_cmp_ge_f64_e64 vcc, |v[6:7]|, s[4:5]
	v_cndmask_b32_e32 v15, v16, v15, vcc
	v_cndmask_b32_e32 v14, v6, v14, vcc
	v_mul_f64 v[18:19], v[26:27], v[14:15]
	v_mul_f64 v[16:17], v[24:25], v[14:15]
	v_fma_f64 v[20:21], v[26:27], v[14:15], -v[18:19]
	v_add_f64 v[30:31], v[16:17], v[20:21]
	v_add_f64 v[32:33], v[18:19], v[30:31]
	s_mov_b32 s4, 0
	v_ldexp_f64 v[34:35], v[32:33], -2
	s_mov_b32 s5, 0x7ff00000
	v_fract_f64_e32 v[36:37], v[34:35]
	v_cmp_neq_f64_e64 vcc, |v[34:35]|, s[4:5]
	v_cndmask_b32_e32 v35, 0, v37, vcc
	v_cndmask_b32_e32 v34, 0, v36, vcc
	v_add_f64 v[36:37], v[30:31], -v[16:17]
	v_add_f64 v[20:21], v[20:21], -v[36:37]
	v_add_f64 v[36:37], v[30:31], -v[36:37]
	v_add_f64 v[36:37], v[16:17], -v[36:37]
	v_add_f64 v[20:21], v[20:21], v[36:37]
	v_fma_f64 v[16:17], v[24:25], v[14:15], -v[16:17]
	v_mul_f64 v[36:37], v[22:23], v[14:15]
	v_add_f64 v[48:49], v[36:37], v[16:17]
	v_add_f64 v[50:51], v[48:49], v[20:21]
	v_add_f64 v[18:19], v[32:33], -v[18:19]
	v_add_f64 v[32:33], v[50:51], -v[48:49]
	;; [unrolled: 1-line block ×5, first 2 shown]
	v_add_f64 v[20:21], v[20:21], v[32:33]
	v_add_f64 v[32:33], v[48:49], -v[36:37]
	v_add_f64 v[16:17], v[16:17], -v[32:33]
	;; [unrolled: 1-line block ×5, first 2 shown]
	v_add_f64 v[30:31], v[18:19], v[50:51]
	v_add_f64 v[16:17], v[16:17], v[32:33]
	v_add_f64 v[18:19], v[30:31], -v[18:19]
	v_add_f64 v[16:17], v[16:17], v[20:21]
	v_fma_f64 v[14:15], v[22:23], v[14:15], -v[36:37]
	v_add_f64 v[18:19], v[50:51], -v[18:19]
	v_add_f64 v[14:15], v[14:15], v[16:17]
	v_ldexp_f64 v[16:17], v[34:35], 2
	v_add_f64 v[14:15], v[18:19], v[14:15]
	v_add_f64 v[18:19], v[30:31], v[16:17]
	v_mov_b32_e32 v20, 0x40100000
	v_cmp_gt_f64_e32 vcc, 0, v[18:19]
	v_mov_b32_e32 v38, 0
	v_cndmask_b32_e32 v39, 0, v20, vcc
	v_add_f64 v[16:17], v[16:17], v[38:39]
	v_add_f64 v[18:19], v[30:31], v[16:17]
	v_cvt_i32_f64_e32 v20, v[18:19]
	v_cvt_f64_i32_e32 v[18:19], v20
	v_add_f64 v[16:17], v[16:17], -v[18:19]
	v_add_f64 v[18:19], v[30:31], v[16:17]
	v_add_f64 v[16:17], v[18:19], -v[16:17]
	v_add_f64 v[16:17], v[30:31], -v[16:17]
	v_add_f64 v[14:15], v[14:15], v[16:17]
	v_cmp_le_f64_e32 vcc, 0.5, v[18:19]
	v_mov_b32_e32 v16, 0x3ff00000
	v_cndmask_b32_e32 v39, 0, v16, vcc
	v_add_f64 v[16:17], v[18:19], -v[38:39]
	v_add_f64 v[18:19], v[16:17], v[14:15]
	v_addc_co_u32_e64 v29, s[4:5], 0, v20, vcc
	v_add_f64 v[16:17], v[18:19], -v[16:17]
	s_mov_b32 s13, 0x3ff921fb
	v_add_f64 v[14:15], v[14:15], -v[16:17]
	v_mul_f64 v[16:17], v[18:19], s[12:13]
	s_mov_b32 s4, 0x33145c07
	v_fma_f64 v[20:21], v[18:19], s[12:13], -v[16:17]
	s_mov_b32 s5, 0x3c91a626
	v_fmac_f64_e32 v[20:21], s[4:5], v[18:19]
	v_fmac_f64_e32 v[20:21], s[12:13], v[14:15]
	v_add_f64 v[14:15], v[16:17], v[20:21]
	v_add_f64 v[16:17], v[14:15], -v[16:17]
	v_add_f64 v[16:17], v[20:21], -v[16:17]
	s_andn2_saveexec_b64 s[4:5], s[14:15]
	s_cbranch_execz .LBB1_11
	s_branch .LBB1_10
.LBB1_9:
	s_andn2_saveexec_b64 s[4:5], s[14:15]
	s_cbranch_execz .LBB1_11
.LBB1_10:
	s_mov_b32 s12, 0x6dc9c883
	s_mov_b32 s13, 0x3fe45f30
	v_mul_f64 v[14:15], |v[6:7]|, s[12:13]
	s_mov_b32 s12, 0x54442d18
	v_rndne_f64_e32 v[18:19], v[14:15]
	s_mov_b32 s13, 0xbff921fb
	v_fma_f64 v[14:15], v[18:19], s[12:13], |v[6:7]|
	s_mov_b32 s13, 0xbc91a626
	s_mov_b32 s12, 0x33145c00
	v_mul_f64 v[20:21], v[18:19], s[12:13]
	v_add_f64 v[32:33], v[14:15], v[20:21]
	v_fma_f64 v[16:17], s[12:13], v[18:19], v[14:15]
	s_mov_b32 s13, 0x3c91a626
	v_add_f64 v[14:15], v[14:15], -v[32:33]
	v_fma_f64 v[30:31], s[12:13], v[18:19], v[20:21]
	v_add_f64 v[14:15], v[14:15], v[20:21]
	v_add_f64 v[20:21], v[32:33], -v[16:17]
	v_add_f64 v[14:15], v[20:21], v[14:15]
	s_mov_b32 s12, 0x252049c0
	v_add_f64 v[20:21], v[14:15], -v[30:31]
	s_mov_b32 s13, 0xb97b839a
	v_fmac_f64_e32 v[20:21], s[12:13], v[18:19]
	v_add_f64 v[14:15], v[16:17], v[20:21]
	v_add_f64 v[16:17], v[14:15], -v[16:17]
	v_add_f64 v[16:17], v[20:21], -v[16:17]
	v_cvt_i32_f64_e32 v29, v[18:19]
.LBB1_11:
	s_or_b64 exec, exec, s[4:5]
                                        ; implicit-def: $vgpr30
                                        ; implicit-def: $vgpr18_vgpr19
                                        ; implicit-def: $vgpr20_vgpr21
	s_and_saveexec_b64 s[4:5], s[10:11]
	s_xor_b64 s[10:11], exec, s[4:5]
	s_cbranch_execz .LBB1_13
; %bb.12:
	s_mov_b32 s4, 0
	s_mov_b32 s5, 0x7b000000
	s_movk_i32 s12, 0xff80
	v_and_b32_e32 v20, 0x7fffffff, v7
	v_ldexp_f64 v[18:19], |v[6:7]|, s12
	v_cmp_ge_f64_e64 vcc, |v[6:7]|, s[4:5]
	v_cndmask_b32_e32 v19, v20, v19, vcc
	v_cndmask_b32_e32 v18, v6, v18, vcc
	v_mul_f64 v[30:31], v[26:27], v[18:19]
	v_mul_f64 v[20:21], v[24:25], v[18:19]
	v_fma_f64 v[26:27], v[26:27], v[18:19], -v[30:31]
	v_add_f64 v[32:33], v[20:21], v[26:27]
	v_add_f64 v[34:35], v[30:31], v[32:33]
	s_mov_b32 s4, 0
	v_ldexp_f64 v[36:37], v[34:35], -2
	s_mov_b32 s5, 0x7ff00000
	v_fract_f64_e32 v[38:39], v[36:37]
	v_cmp_neq_f64_e64 vcc, |v[36:37]|, s[4:5]
	v_cndmask_b32_e32 v37, 0, v39, vcc
	v_cndmask_b32_e32 v36, 0, v38, vcc
	v_add_f64 v[38:39], v[32:33], -v[20:21]
	v_add_f64 v[26:27], v[26:27], -v[38:39]
	;; [unrolled: 1-line block ×4, first 2 shown]
	v_fma_f64 v[20:21], v[24:25], v[18:19], -v[20:21]
	v_mul_f64 v[24:25], v[22:23], v[18:19]
	v_add_f64 v[26:27], v[26:27], v[38:39]
	v_add_f64 v[38:39], v[24:25], v[20:21]
	;; [unrolled: 1-line block ×3, first 2 shown]
	v_add_f64 v[30:31], v[34:35], -v[30:31]
	v_add_f64 v[34:35], v[50:51], -v[38:39]
	;; [unrolled: 1-line block ×5, first 2 shown]
	v_add_f64 v[26:27], v[26:27], v[34:35]
	v_add_f64 v[34:35], v[38:39], -v[24:25]
	v_add_f64 v[20:21], v[20:21], -v[34:35]
	;; [unrolled: 1-line block ×4, first 2 shown]
	v_add_f64 v[20:21], v[20:21], v[34:35]
	v_add_f64 v[30:31], v[32:33], -v[30:31]
	v_add_f64 v[20:21], v[20:21], v[26:27]
	v_fma_f64 v[18:19], v[22:23], v[18:19], -v[24:25]
	v_add_f64 v[32:33], v[30:31], v[50:51]
	v_add_f64 v[18:19], v[18:19], v[20:21]
	v_ldexp_f64 v[20:21], v[36:37], 2
	v_add_f64 v[22:23], v[32:33], v[20:21]
	v_mov_b32_e32 v24, 0x40100000
	v_cmp_gt_f64_e32 vcc, 0, v[22:23]
	v_mov_b32_e32 v48, 0
	v_cndmask_b32_e32 v49, 0, v24, vcc
	v_add_f64 v[20:21], v[20:21], v[48:49]
	v_add_f64 v[22:23], v[32:33], v[20:21]
	v_cvt_i32_f64_e32 v24, v[22:23]
	v_cvt_f64_i32_e32 v[22:23], v24
	v_add_f64 v[20:21], v[20:21], -v[22:23]
	v_add_f64 v[30:31], v[32:33], -v[30:31]
	v_add_f64 v[22:23], v[32:33], v[20:21]
	v_add_f64 v[30:31], v[50:51], -v[30:31]
	v_add_f64 v[20:21], v[22:23], -v[20:21]
	v_add_f64 v[18:19], v[30:31], v[18:19]
	v_add_f64 v[20:21], v[32:33], -v[20:21]
	v_add_f64 v[18:19], v[18:19], v[20:21]
	v_cmp_le_f64_e32 vcc, 0.5, v[22:23]
	v_mov_b32_e32 v20, 0x3ff00000
	v_cndmask_b32_e32 v49, 0, v20, vcc
	v_addc_co_u32_e64 v30, s[4:5], 0, v24, vcc
	v_add_f64 v[20:21], v[22:23], -v[48:49]
	v_add_f64 v[22:23], v[20:21], v[18:19]
	s_mov_b32 s4, 0x54442d18
	v_add_f64 v[20:21], v[22:23], -v[20:21]
	s_mov_b32 s5, 0x3ff921fb
	v_add_f64 v[18:19], v[18:19], -v[20:21]
	v_mul_f64 v[20:21], v[22:23], s[4:5]
	s_mov_b32 s12, 0x33145c07
	v_fma_f64 v[24:25], v[22:23], s[4:5], -v[20:21]
	s_mov_b32 s13, 0x3c91a626
	v_fmac_f64_e32 v[24:25], s[12:13], v[22:23]
	v_fmac_f64_e32 v[24:25], s[4:5], v[18:19]
	v_add_f64 v[18:19], v[20:21], v[24:25]
	v_add_f64 v[20:21], v[18:19], -v[20:21]
	v_add_f64 v[20:21], v[24:25], -v[20:21]
	s_andn2_saveexec_b64 s[4:5], s[10:11]
	s_cbranch_execnz .LBB1_14
	s_branch .LBB1_15
.LBB1_13:
	s_andn2_saveexec_b64 s[4:5], s[10:11]
	s_cbranch_execz .LBB1_15
.LBB1_14:
	s_mov_b32 s10, 0x6dc9c883
	s_mov_b32 s11, 0x3fe45f30
	v_mul_f64 v[18:19], |v[6:7]|, s[10:11]
	s_mov_b32 s10, 0x54442d18
	v_rndne_f64_e32 v[22:23], v[18:19]
	s_mov_b32 s11, 0xbff921fb
	v_fma_f64 v[18:19], v[22:23], s[10:11], |v[6:7]|
	s_mov_b32 s11, 0xbc91a626
	s_mov_b32 s10, 0x33145c00
	v_mul_f64 v[24:25], v[22:23], s[10:11]
	v_add_f64 v[30:31], v[18:19], v[24:25]
	v_fma_f64 v[20:21], s[10:11], v[22:23], v[18:19]
	s_mov_b32 s11, 0x3c91a626
	v_add_f64 v[18:19], v[18:19], -v[30:31]
	v_fma_f64 v[26:27], s[10:11], v[22:23], v[24:25]
	v_add_f64 v[18:19], v[18:19], v[24:25]
	v_add_f64 v[24:25], v[30:31], -v[20:21]
	v_add_f64 v[18:19], v[24:25], v[18:19]
	s_mov_b32 s10, 0x252049c0
	v_add_f64 v[24:25], v[18:19], -v[26:27]
	s_mov_b32 s11, 0xb97b839a
	v_fmac_f64_e32 v[24:25], s[10:11], v[22:23]
	v_add_f64 v[18:19], v[20:21], v[24:25]
	v_add_f64 v[20:21], v[18:19], -v[20:21]
	v_add_f64 v[20:21], v[24:25], -v[20:21]
	v_cvt_i32_f64_e32 v30, v[22:23]
.LBB1_15:
	s_or_b64 exec, exec, s[4:5]
	s_mov_b32 s4, 0
	s_mov_b32 s5, 0x40390000
	v_div_scale_f64 v[22:23], s[10:11], v[12:13], v[12:13], s[4:5]
	v_rcp_f64_e32 v[24:25], v[22:23]
	v_mov_b32_e32 v34, 0xb1759c7f
	v_mov_b32_e32 v35, 0x408ac370
	;; [unrolled: 1-line block ×3, first 2 shown]
	v_fma_f64 v[26:27], -v[22:23], v[24:25], 1.0
	v_fmac_f64_e32 v[24:25], v[24:25], v[26:27]
	v_fma_f64 v[26:27], -v[22:23], v[24:25], 1.0
	v_fmac_f64_e32 v[24:25], v[24:25], v[26:27]
	v_div_scale_f64 v[26:27], vcc, s[4:5], v[12:13], s[4:5]
	v_mul_f64 v[32:33], v[26:27], v[24:25]
	v_fma_f64 v[22:23], -v[22:23], v[32:33], v[26:27]
	v_mov_b32_e32 v26, 0xab5454e3
	s_nop 0
	v_div_fmas_f64 v[22:23], v[22:23], v[24:25], v[32:33]
	v_div_fixup_f64 v[12:13], v[22:23], v[12:13], s[4:5]
	v_mov_b32_e32 v22, 0x983b6b27
	v_mov_b32_e32 v23, 0x3f4a1d30
	v_fmac_f64_e32 v[22:23], 0, v[12:13]
	v_mov_b32_e32 v24, 0xb35dd1cf
	v_mov_b32_e32 v25, 0x3fb534b0
	v_fmac_f64_e32 v[24:25], v[12:13], v[22:23]
	;; [unrolled: 3-line block ×7, first 2 shown]
	v_mov_b32_e32 v27, 0x3fb5ebc5
	v_fmac_f64_e32 v[26:27], v[12:13], v[22:23]
	v_mov_b32_e32 v22, 0xc9b3069f
	v_mov_b32_e32 v23, 0x3ff40e72
	v_fmac_f64_e32 v[22:23], v[12:13], v[26:27]
	v_mov_b32_e32 v26, 0xe68162bb
	;; [unrolled: 3-line block ×4, first 2 shown]
	v_mov_b32_e32 v27, 0x40153965
	v_fmac_f64_e32 v[26:27], v[12:13], v[22:23]
	v_fma_f64 v[22:23], v[12:13], v[26:27], 1.0
	v_mov_b32_e32 v26, 0x38a5384a
	v_mov_b32_e32 v27, 0xbf874742
	v_fmac_f64_e32 v[26:27], 0, v[12:13]
	v_mov_b32_e32 v32, 0x3a321174
	v_mov_b32_e32 v33, 0xbff4853b
	v_fmac_f64_e32 v[32:33], v[12:13], v[26:27]
	;; [unrolled: 3-line block ×9, first 2 shown]
	v_fmac_f64_e32 v[34:35], v[12:13], v[26:27]
	v_mov_b32_e32 v26, 0xbd748cb5
	v_mov_b32_e32 v27, 0x40ae54cd
	v_fmac_f64_e32 v[26:27], v[12:13], v[34:35]
	v_mov_b32_e32 v34, 0xbdefd63e
	v_mov_b32_e32 v35, 0x40bc4877
	;; [unrolled: 3-line block ×4, first 2 shown]
	v_fma_f64 v[24:25], v[12:13], v[24:25], 1.0
	v_fmac_f64_e32 v[34:35], v[12:13], v[26:27]
	v_div_scale_f64 v[26:27], s[4:5], v[22:23], v[22:23], v[24:25]
	v_rcp_f64_e32 v[36:37], v[26:27]
	v_mov_b32_e32 v39, 0x406e402f
	v_fmac_f64_e32 v[38:39], v[12:13], v[34:35]
	s_mov_b32 s4, 0x9037ab78
	v_fma_f64 v[12:13], -v[26:27], v[36:37], 1.0
	v_fmac_f64_e32 v[36:37], v[36:37], v[12:13]
	v_fma_f64 v[12:13], -v[26:27], v[36:37], 1.0
	v_fmac_f64_e32 v[36:37], v[36:37], v[12:13]
	v_div_scale_f64 v[12:13], vcc, v[24:25], v[22:23], v[24:25]
	v_mul_f64 v[34:35], v[12:13], v[36:37]
	v_fma_f64 v[12:13], -v[26:27], v[34:35], v[12:13]
	s_mov_b32 s5, 0x3e21eeb6
	s_nop 0
	v_div_fmas_f64 v[12:13], v[12:13], v[36:37], v[34:35]
	s_mov_b32 s10, 0x46cc5e42
	v_div_fixup_f64 v[12:13], v[12:13], v[22:23], v[24:25]
	v_mul_f64 v[22:23], v[14:15], v[14:15]
	s_mov_b32 s11, 0xbda907db
	v_pk_mov_b32 v[36:37], s[4:5], s[4:5] op_sel:[0,1]
	s_mov_b32 s12, 0xa17f65f6
	v_mul_f64 v[24:25], v[22:23], 0.5
	v_fma_f64 v[48:49], s[10:11], v[22:23], v[36:37]
	s_mov_b32 s13, 0xbe927e4f
	s_mov_b32 s14, 0x19f4ec90
	v_add_f64 v[26:27], -v[24:25], 1.0
	v_fma_f64 v[48:49], v[22:23], v[48:49], s[12:13]
	s_mov_b32 s15, 0x3efa01a0
	s_mov_b32 s16, 0x16c16967
	v_add_f64 v[34:35], -v[26:27], 1.0
	v_fma_f64 v[48:49], v[22:23], v[48:49], s[14:15]
	s_mov_b32 s17, 0xbf56c16c
	s_mov_b32 s18, 0x55555555
	v_add_f64 v[24:25], v[34:35], -v[24:25]
	v_fma_f64 v[48:49], v[22:23], v[48:49], s[16:17]
	s_mov_b32 s19, 0x3fa55555
	v_mul_f64 v[34:35], v[22:23], v[22:23]
	v_fma_f64 v[48:49], v[22:23], v[48:49], s[18:19]
	v_fma_f64 v[24:25], v[14:15], -v[16:17], v[24:25]
	s_mov_b32 s4, 0xb42fdfa7
	v_fmac_f64_e32 v[24:25], v[34:35], v[48:49]
	s_mov_b32 s5, 0xbe5ae600
	s_mov_b32 s20, 0xf9a43bb8
	v_add_f64 v[24:25], v[26:27], v[24:25]
	s_mov_b32 s21, 0x3de5e0b2
	v_pk_mov_b32 v[26:27], s[4:5], s[4:5] op_sel:[0,1]
	s_mov_b32 s22, 0x796cde01
	v_fma_f64 v[34:35], s[20:21], v[22:23], v[26:27]
	s_mov_b32 s23, 0x3ec71de3
	s_mov_b32 s24, 0x19e83e5c
	v_fma_f64 v[34:35], v[22:23], v[34:35], s[22:23]
	s_mov_b32 s25, 0xbf2a01a0
	;; [unrolled: 3-line block ×3, first 2 shown]
	v_fma_f64 v[34:35], v[22:23], v[34:35], s[26:27]
	v_mul_f64 v[48:49], v[14:15], -v[22:23]
	v_mul_f64 v[50:51], v[16:17], 0.5
	v_fmac_f64_e32 v[50:51], v[48:49], v[34:35]
	v_fma_f64 v[16:17], v[22:23], v[50:51], -v[16:17]
	s_mov_b32 s29, 0xbfc55555
	s_mov_b32 s28, s18
	v_fmac_f64_e32 v[16:17], s[28:29], v[48:49]
	v_add_f64 v[14:15], v[14:15], -v[16:17]
	v_and_b32_e32 v16, 1, v29
	v_xor_b32_e32 v15, 0x80000000, v15
	v_cmp_eq_u32_e32 vcc, 0, v16
	v_cndmask_b32_e32 v22, v14, v24, vcc
	v_cndmask_b32_e32 v14, v15, v25, vcc
	v_lshlrev_b32_e32 v15, 30, v29
	s_mov_b32 s30, 0
	v_and_b32_e32 v15, 0x80000000, v15
	s_mov_b32 s31, 0xc0140000
	v_xor_b32_e32 v23, v14, v15
	v_div_scale_f64 v[14:15], s[4:5], v[8:9], v[8:9], s[30:31]
	v_rcp_f64_e32 v[16:17], v[14:15]
	s_movk_i32 vcc_lo, 0x1f8
	v_cmp_class_f64_e64 s[4:5], v[6:7], vcc_lo
	v_and_b32_e32 v6, 1, v30
	v_fma_f64 v[24:25], -v[14:15], v[16:17], 1.0
	v_fmac_f64_e32 v[16:17], v[16:17], v[24:25]
	v_fma_f64 v[24:25], -v[14:15], v[16:17], 1.0
	v_fmac_f64_e32 v[16:17], v[16:17], v[24:25]
	v_div_scale_f64 v[24:25], vcc, s[30:31], v[8:9], s[30:31]
	v_mul_f64 v[34:35], v[24:25], v[16:17]
	v_fma_f64 v[14:15], -v[14:15], v[34:35], v[24:25]
	v_div_scale_f64 v[24:25], s[34:35], v[38:39], v[38:39], v[32:33]
	v_rcp_f64_e32 v[48:49], v[24:25]
	v_div_fmas_f64 v[14:15], v[14:15], v[16:17], v[34:35]
	v_div_fixup_f64 v[14:15], v[14:15], v[8:9], s[30:31]
	v_mov_b32_e32 v29, 0x7ff80000
	v_fma_f64 v[16:17], -v[24:25], v[48:49], 1.0
	v_fmac_f64_e32 v[48:49], v[48:49], v[16:17]
	v_fma_f64 v[16:17], -v[24:25], v[48:49], 1.0
	v_fmac_f64_e32 v[48:49], v[48:49], v[16:17]
	v_div_scale_f64 v[16:17], vcc, v[32:33], v[38:39], v[32:33]
	v_mul_f64 v[34:35], v[16:17], v[48:49]
	v_fma_f64 v[16:17], -v[24:25], v[34:35], v[16:17]
	v_cndmask_b32_e64 v22, 0, v22, s[4:5]
	s_nop 0
	v_div_fmas_f64 v[16:17], v[16:17], v[48:49], v[34:35]
	v_div_fixup_f64 v[16:17], v[16:17], v[38:39], v[32:33]
	v_mul_f64 v[14:15], v[14:15], v[16:17]
	v_mul_f64 v[16:17], v[18:19], v[18:19]
	v_mul_f64 v[24:25], v[16:17], 0.5
	v_fmac_f64_e32 v[36:37], s[10:11], v[16:17]
	v_add_f64 v[32:33], -v[24:25], 1.0
	v_fma_f64 v[36:37], v[16:17], v[36:37], s[12:13]
	v_add_f64 v[34:35], -v[32:33], 1.0
	v_fma_f64 v[36:37], v[16:17], v[36:37], s[14:15]
	v_add_f64 v[24:25], v[34:35], -v[24:25]
	v_fma_f64 v[36:37], v[16:17], v[36:37], s[16:17]
	v_fmac_f64_e32 v[26:27], s[20:21], v[16:17]
	v_mul_f64 v[34:35], v[16:17], v[16:17]
	v_fma_f64 v[36:37], v[16:17], v[36:37], s[18:19]
	v_fma_f64 v[24:25], v[18:19], -v[20:21], v[24:25]
	v_fma_f64 v[26:27], v[16:17], v[26:27], s[22:23]
	v_fmac_f64_e32 v[24:25], v[34:35], v[36:37]
	v_fma_f64 v[26:27], v[16:17], v[26:27], s[24:25]
	v_add_f64 v[24:25], v[32:33], v[24:25]
	v_fma_f64 v[26:27], v[16:17], v[26:27], s[26:27]
	v_mul_f64 v[32:33], v[18:19], -v[16:17]
	v_mul_f64 v[34:35], v[20:21], 0.5
	v_fmac_f64_e32 v[34:35], v[32:33], v[26:27]
	v_fma_f64 v[16:17], v[16:17], v[34:35], -v[20:21]
	v_fmac_f64_e32 v[16:17], s[28:29], v[32:33]
	v_add_f64 v[16:17], v[18:19], -v[16:17]
	v_cmp_eq_u32_e32 vcc, 0, v6
	v_cndmask_b32_e32 v6, v24, v16, vcc
	v_cndmask_b32_e32 v16, v25, v17, vcc
	v_lshlrev_b32_e32 v17, 30, v30
	v_xor_b32_e32 v7, v17, v7
	v_and_b32_e32 v7, 0x80000000, v7
	v_xor_b32_e32 v7, v16, v7
	v_cndmask_b32_e64 v23, v29, v23, s[4:5]
	v_cndmask_b32_e64 v6, 0, v6, s[4:5]
	;; [unrolled: 1-line block ×3, first 2 shown]
	s_mov_b32 s4, 0
	s_brev_b32 s5, 8
	v_mul_f64 v[6:7], v[14:15], v[6:7]
	v_cmp_gt_f64_e32 vcc, s[4:5], v[8:9]
	v_fmac_f64_e32 v[6:7], v[12:13], v[22:23]
	v_cndmask_b32_e64 v12, 0, 1, vcc
	v_lshlrev_b32_e32 v12, 8, v12
	v_ldexp_f64 v[8:9], v[8:9], v12
	v_rsq_f64_e32 v[12:13], v[8:9]
	s_mov_b32 s4, 0x33d43651
	s_mov_b32 s5, 0x3fe98845
	v_mul_f64 v[6:7], v[6:7], s[4:5]
	v_mul_f64 v[14:15], v[8:9], v[12:13]
	v_mul_f64 v[12:13], v[12:13], 0.5
	v_fma_f64 v[16:17], -v[12:13], v[14:15], 0.5
	v_fmac_f64_e32 v[14:15], v[14:15], v[16:17]
	v_fma_f64 v[18:19], -v[14:15], v[14:15], v[8:9]
	v_fmac_f64_e32 v[12:13], v[12:13], v[16:17]
	v_fmac_f64_e32 v[14:15], v[18:19], v[12:13]
	v_fma_f64 v[16:17], -v[14:15], v[14:15], v[8:9]
	v_fmac_f64_e32 v[14:15], v[16:17], v[12:13]
	v_mov_b32_e32 v12, 0xffffff80
	v_cndmask_b32_e32 v12, 0, v12, vcc
	v_ldexp_f64 v[12:13], v[14:15], v12
	v_mov_b32_e32 v14, 0x260
	v_cmp_class_f64_e32 vcc, v[8:9], v14
	v_cndmask_b32_e32 v9, v13, v9, vcc
	v_cndmask_b32_e32 v8, v12, v8, vcc
	v_div_scale_f64 v[12:13], s[4:5], v[8:9], v[8:9], v[6:7]
	v_rcp_f64_e32 v[14:15], v[12:13]
	v_fma_f64 v[16:17], -v[12:13], v[14:15], 1.0
	v_fmac_f64_e32 v[14:15], v[14:15], v[16:17]
	v_fma_f64 v[16:17], -v[12:13], v[14:15], 1.0
	v_fmac_f64_e32 v[14:15], v[14:15], v[16:17]
	v_div_scale_f64 v[16:17], vcc, v[6:7], v[8:9], v[6:7]
	v_mul_f64 v[18:19], v[16:17], v[14:15]
	v_fma_f64 v[12:13], -v[12:13], v[18:19], v[16:17]
	s_nop 1
	v_div_fmas_f64 v[12:13], v[12:13], v[14:15], v[18:19]
	v_div_fixup_f64 v[6:7], v[12:13], v[8:9], v[6:7]
.LBB1_16:
	s_or_b64 exec, exec, s[8:9]
	v_xor_b32_e32 v8, 0x80000000, v11
	v_cmp_gt_f64_e32 vcc, 0, v[10:11]
	s_mov_b32 s4, 0
	v_cndmask_b32_e32 v11, v11, v8, vcc
	s_mov_b32 s5, 0x40140000
	v_cmp_ge_f64_e32 vcc, s[4:5], v[10:11]
	v_mul_f64 v[12:13], v[10:11], v[10:11]
	s_and_saveexec_b64 s[4:5], vcc
	s_xor_b64 s[4:5], exec, s[4:5]
	s_cbranch_execz .LBB1_22
; %bb.17:
	s_mov_b32 s8, 0x88e368f1
	s_mov_b32 s9, 0x3ee4f8b5
	v_cmp_ngt_f64_e32 vcc, s[8:9], v[10:11]
	s_and_saveexec_b64 s[8:9], vcc
	s_xor_b64 s[8:9], exec, s[8:9]
	s_cbranch_execz .LBB1_19
; %bb.18:
	v_mov_b32_e32 v8, 0xad1c8325
	v_mov_b32_e32 v9, 0xc1f1dc53
	v_fmac_f64_e32 v[8:9], 0, v[12:13]
	v_mov_b32_e32 v10, 0xc772990d
	v_mov_b32_e32 v11, 0x427c7751
	v_fmac_f64_e32 v[10:11], v[12:13], v[8:9]
	;; [unrolled: 3-line block ×10, first 2 shown]
	v_mov_b32_e32 v14, 0xc7b662cc
	v_mov_b32_e32 v15, 0x43b7be34
	s_mov_b32 s10, 0x80462bbb
	v_fmac_f64_e32 v[14:15], v[12:13], v[10:11]
	v_mov_b32_e32 v10, 0x69ff5fb4
	v_mov_b32_e32 v11, 0x43413ef8
	s_mov_b32 s11, 0xc01721fb
	v_fmac_f64_e32 v[10:11], v[12:13], v[8:9]
	v_add_f64 v[8:9], v[12:13], s[10:11]
	s_mov_b32 s10, 0xa621dd6f
	s_mov_b32 s11, 0xc03e78a4
	v_add_f64 v[12:13], v[12:13], s[10:11]
	v_mul_f64 v[8:9], v[8:9], v[12:13]
	v_mul_f64 v[8:9], v[8:9], v[10:11]
	v_div_scale_f64 v[10:11], s[10:11], v[14:15], v[14:15], v[8:9]
	v_rcp_f64_e32 v[12:13], v[10:11]
	v_fma_f64 v[16:17], -v[10:11], v[12:13], 1.0
	v_fmac_f64_e32 v[12:13], v[12:13], v[16:17]
	v_fma_f64 v[16:17], -v[10:11], v[12:13], 1.0
	v_fmac_f64_e32 v[12:13], v[12:13], v[16:17]
	v_div_scale_f64 v[16:17], vcc, v[8:9], v[14:15], v[8:9]
	v_mul_f64 v[18:19], v[16:17], v[12:13]
	v_fma_f64 v[10:11], -v[10:11], v[18:19], v[16:17]
	s_nop 1
	v_div_fmas_f64 v[10:11], v[10:11], v[12:13], v[18:19]
	v_div_fixup_f64 v[8:9], v[10:11], v[14:15], v[8:9]
                                        ; implicit-def: $vgpr12_vgpr13
.LBB1_19:
	s_andn2_saveexec_b64 s[8:9], s[8:9]
; %bb.20:
	s_mov_b32 s10, 0
	s_mov_b32 s11, 0xbfd00000
	v_fma_f64 v[8:9], v[12:13], s[10:11], 1.0
; %bb.21:
	s_or_b64 exec, exec, s[8:9]
                                        ; implicit-def: $vgpr12_vgpr13
                                        ; implicit-def: $vgpr10_vgpr11
.LBB1_22:
	s_andn2_saveexec_b64 s[8:9], s[4:5]
	s_cbranch_execz .LBB1_32
; %bb.23:
	s_mov_b32 s13, 0xbfe921fb
	s_mov_b32 s12, 0x54442d18
	;; [unrolled: 1-line block ×3, first 2 shown]
	v_add_f64 v[8:9], v[10:11], s[12:13]
	s_mov_b32 s5, 0x41d00000
	v_cmp_nlt_f64_e64 s[10:11], |v[8:9]|, s[4:5]
	v_trig_preop_f64 v[26:27], |v[8:9]|, 0
	v_trig_preop_f64 v[24:25], |v[8:9]|, 1
	;; [unrolled: 1-line block ×3, first 2 shown]
                                        ; implicit-def: $vgpr29
                                        ; implicit-def: $vgpr14_vgpr15
                                        ; implicit-def: $vgpr16_vgpr17
	s_and_saveexec_b64 s[4:5], s[10:11]
	s_xor_b64 s[14:15], exec, s[4:5]
	s_cbranch_execz .LBB1_25
; %bb.24:
	s_mov_b32 s4, 0
	s_mov_b32 s5, 0x7b000000
	s_movk_i32 s13, 0xff80
	v_and_b32_e32 v16, 0x7fffffff, v9
	v_ldexp_f64 v[14:15], |v[8:9]|, s13
	v_cmp_ge_f64_e64 vcc, |v[8:9]|, s[4:5]
	v_cndmask_b32_e32 v15, v16, v15, vcc
	v_cndmask_b32_e32 v14, v8, v14, vcc
	v_mul_f64 v[18:19], v[26:27], v[14:15]
	v_mul_f64 v[16:17], v[24:25], v[14:15]
	v_fma_f64 v[20:21], v[26:27], v[14:15], -v[18:19]
	v_add_f64 v[30:31], v[16:17], v[20:21]
	v_add_f64 v[32:33], v[18:19], v[30:31]
	s_mov_b32 s4, 0
	v_ldexp_f64 v[34:35], v[32:33], -2
	s_mov_b32 s5, 0x7ff00000
	v_fract_f64_e32 v[36:37], v[34:35]
	v_cmp_neq_f64_e64 vcc, |v[34:35]|, s[4:5]
	v_cndmask_b32_e32 v35, 0, v37, vcc
	v_cndmask_b32_e32 v34, 0, v36, vcc
	v_add_f64 v[36:37], v[30:31], -v[16:17]
	v_add_f64 v[20:21], v[20:21], -v[36:37]
	;; [unrolled: 1-line block ×4, first 2 shown]
	v_add_f64 v[20:21], v[20:21], v[36:37]
	v_fma_f64 v[16:17], v[24:25], v[14:15], -v[16:17]
	v_mul_f64 v[36:37], v[22:23], v[14:15]
	v_add_f64 v[48:49], v[36:37], v[16:17]
	v_add_f64 v[50:51], v[48:49], v[20:21]
	v_add_f64 v[18:19], v[32:33], -v[18:19]
	v_add_f64 v[32:33], v[50:51], -v[48:49]
	;; [unrolled: 1-line block ×5, first 2 shown]
	v_add_f64 v[20:21], v[20:21], v[32:33]
	v_add_f64 v[32:33], v[48:49], -v[36:37]
	v_add_f64 v[16:17], v[16:17], -v[32:33]
	;; [unrolled: 1-line block ×5, first 2 shown]
	v_add_f64 v[30:31], v[18:19], v[50:51]
	v_add_f64 v[16:17], v[16:17], v[32:33]
	v_add_f64 v[18:19], v[30:31], -v[18:19]
	v_add_f64 v[16:17], v[16:17], v[20:21]
	v_fma_f64 v[14:15], v[22:23], v[14:15], -v[36:37]
	v_add_f64 v[18:19], v[50:51], -v[18:19]
	v_add_f64 v[14:15], v[14:15], v[16:17]
	v_ldexp_f64 v[16:17], v[34:35], 2
	v_add_f64 v[14:15], v[18:19], v[14:15]
	v_add_f64 v[18:19], v[30:31], v[16:17]
	v_mov_b32_e32 v20, 0x40100000
	v_cmp_gt_f64_e32 vcc, 0, v[18:19]
	v_mov_b32_e32 v38, 0
	v_cndmask_b32_e32 v39, 0, v20, vcc
	v_add_f64 v[16:17], v[16:17], v[38:39]
	v_add_f64 v[18:19], v[30:31], v[16:17]
	v_cvt_i32_f64_e32 v20, v[18:19]
	v_cvt_f64_i32_e32 v[18:19], v20
	v_add_f64 v[16:17], v[16:17], -v[18:19]
	v_add_f64 v[18:19], v[30:31], v[16:17]
	v_add_f64 v[16:17], v[18:19], -v[16:17]
	v_add_f64 v[16:17], v[30:31], -v[16:17]
	v_add_f64 v[14:15], v[14:15], v[16:17]
	v_cmp_le_f64_e32 vcc, 0.5, v[18:19]
	v_mov_b32_e32 v16, 0x3ff00000
	v_cndmask_b32_e32 v39, 0, v16, vcc
	v_add_f64 v[16:17], v[18:19], -v[38:39]
	v_add_f64 v[18:19], v[16:17], v[14:15]
	v_addc_co_u32_e64 v29, s[4:5], 0, v20, vcc
	v_add_f64 v[16:17], v[18:19], -v[16:17]
	s_mov_b32 s13, 0x3ff921fb
	v_add_f64 v[14:15], v[14:15], -v[16:17]
	v_mul_f64 v[16:17], v[18:19], s[12:13]
	s_mov_b32 s4, 0x33145c07
	v_fma_f64 v[20:21], v[18:19], s[12:13], -v[16:17]
	s_mov_b32 s5, 0x3c91a626
	v_fmac_f64_e32 v[20:21], s[4:5], v[18:19]
	v_fmac_f64_e32 v[20:21], s[12:13], v[14:15]
	v_add_f64 v[14:15], v[16:17], v[20:21]
	v_add_f64 v[16:17], v[14:15], -v[16:17]
	v_add_f64 v[16:17], v[20:21], -v[16:17]
	s_andn2_saveexec_b64 s[4:5], s[14:15]
	s_cbranch_execz .LBB1_27
	s_branch .LBB1_26
.LBB1_25:
	s_andn2_saveexec_b64 s[4:5], s[14:15]
	s_cbranch_execz .LBB1_27
.LBB1_26:
	s_mov_b32 s12, 0x6dc9c883
	s_mov_b32 s13, 0x3fe45f30
	v_mul_f64 v[14:15], |v[8:9]|, s[12:13]
	s_mov_b32 s12, 0x54442d18
	v_rndne_f64_e32 v[18:19], v[14:15]
	s_mov_b32 s13, 0xbff921fb
	v_fma_f64 v[14:15], v[18:19], s[12:13], |v[8:9]|
	s_mov_b32 s13, 0xbc91a626
	s_mov_b32 s12, 0x33145c00
	v_mul_f64 v[20:21], v[18:19], s[12:13]
	v_add_f64 v[32:33], v[14:15], v[20:21]
	v_fma_f64 v[16:17], s[12:13], v[18:19], v[14:15]
	s_mov_b32 s13, 0x3c91a626
	v_add_f64 v[14:15], v[14:15], -v[32:33]
	v_fma_f64 v[30:31], s[12:13], v[18:19], v[20:21]
	v_add_f64 v[14:15], v[14:15], v[20:21]
	v_add_f64 v[20:21], v[32:33], -v[16:17]
	v_add_f64 v[14:15], v[20:21], v[14:15]
	s_mov_b32 s12, 0x252049c0
	v_add_f64 v[20:21], v[14:15], -v[30:31]
	s_mov_b32 s13, 0xb97b839a
	v_fmac_f64_e32 v[20:21], s[12:13], v[18:19]
	v_add_f64 v[14:15], v[16:17], v[20:21]
	v_add_f64 v[16:17], v[14:15], -v[16:17]
	v_add_f64 v[16:17], v[20:21], -v[16:17]
	v_cvt_i32_f64_e32 v29, v[18:19]
.LBB1_27:
	s_or_b64 exec, exec, s[4:5]
                                        ; implicit-def: $vgpr30
                                        ; implicit-def: $vgpr18_vgpr19
                                        ; implicit-def: $vgpr20_vgpr21
	s_and_saveexec_b64 s[4:5], s[10:11]
	s_xor_b64 s[10:11], exec, s[4:5]
	s_cbranch_execz .LBB1_29
; %bb.28:
	s_mov_b32 s4, 0
	s_mov_b32 s5, 0x7b000000
	s_movk_i32 s12, 0xff80
	v_and_b32_e32 v20, 0x7fffffff, v9
	v_ldexp_f64 v[18:19], |v[8:9]|, s12
	v_cmp_ge_f64_e64 vcc, |v[8:9]|, s[4:5]
	v_cndmask_b32_e32 v19, v20, v19, vcc
	v_cndmask_b32_e32 v18, v8, v18, vcc
	v_mul_f64 v[30:31], v[26:27], v[18:19]
	v_mul_f64 v[20:21], v[24:25], v[18:19]
	v_fma_f64 v[26:27], v[26:27], v[18:19], -v[30:31]
	v_add_f64 v[32:33], v[20:21], v[26:27]
	v_add_f64 v[34:35], v[30:31], v[32:33]
	s_mov_b32 s4, 0
	v_ldexp_f64 v[36:37], v[34:35], -2
	s_mov_b32 s5, 0x7ff00000
	v_fract_f64_e32 v[38:39], v[36:37]
	v_cmp_neq_f64_e64 vcc, |v[36:37]|, s[4:5]
	v_cndmask_b32_e32 v37, 0, v39, vcc
	v_cndmask_b32_e32 v36, 0, v38, vcc
	v_add_f64 v[38:39], v[32:33], -v[20:21]
	v_add_f64 v[26:27], v[26:27], -v[38:39]
	;; [unrolled: 1-line block ×4, first 2 shown]
	v_fma_f64 v[20:21], v[24:25], v[18:19], -v[20:21]
	v_mul_f64 v[24:25], v[22:23], v[18:19]
	v_add_f64 v[26:27], v[26:27], v[38:39]
	v_add_f64 v[38:39], v[24:25], v[20:21]
	;; [unrolled: 1-line block ×3, first 2 shown]
	v_add_f64 v[30:31], v[34:35], -v[30:31]
	v_add_f64 v[34:35], v[50:51], -v[38:39]
	v_add_f64 v[26:27], v[26:27], -v[34:35]
	v_add_f64 v[34:35], v[50:51], -v[34:35]
	v_add_f64 v[34:35], v[38:39], -v[34:35]
	v_add_f64 v[26:27], v[26:27], v[34:35]
	v_add_f64 v[34:35], v[38:39], -v[24:25]
	v_add_f64 v[20:21], v[20:21], -v[34:35]
	;; [unrolled: 1-line block ×4, first 2 shown]
	v_add_f64 v[20:21], v[20:21], v[34:35]
	v_add_f64 v[30:31], v[32:33], -v[30:31]
	v_add_f64 v[20:21], v[20:21], v[26:27]
	v_fma_f64 v[18:19], v[22:23], v[18:19], -v[24:25]
	v_add_f64 v[32:33], v[30:31], v[50:51]
	v_add_f64 v[18:19], v[18:19], v[20:21]
	v_ldexp_f64 v[20:21], v[36:37], 2
	v_add_f64 v[22:23], v[32:33], v[20:21]
	v_mov_b32_e32 v24, 0x40100000
	v_cmp_gt_f64_e32 vcc, 0, v[22:23]
	v_mov_b32_e32 v48, 0
	v_cndmask_b32_e32 v49, 0, v24, vcc
	v_add_f64 v[20:21], v[20:21], v[48:49]
	v_add_f64 v[22:23], v[32:33], v[20:21]
	v_cvt_i32_f64_e32 v24, v[22:23]
	v_cvt_f64_i32_e32 v[22:23], v24
	v_add_f64 v[20:21], v[20:21], -v[22:23]
	v_add_f64 v[30:31], v[32:33], -v[30:31]
	v_add_f64 v[22:23], v[32:33], v[20:21]
	v_add_f64 v[30:31], v[50:51], -v[30:31]
	v_add_f64 v[20:21], v[22:23], -v[20:21]
	v_add_f64 v[18:19], v[30:31], v[18:19]
	v_add_f64 v[20:21], v[32:33], -v[20:21]
	v_add_f64 v[18:19], v[18:19], v[20:21]
	v_cmp_le_f64_e32 vcc, 0.5, v[22:23]
	v_mov_b32_e32 v20, 0x3ff00000
	v_cndmask_b32_e32 v49, 0, v20, vcc
	v_addc_co_u32_e64 v30, s[4:5], 0, v24, vcc
	v_add_f64 v[20:21], v[22:23], -v[48:49]
	v_add_f64 v[22:23], v[20:21], v[18:19]
	s_mov_b32 s4, 0x54442d18
	v_add_f64 v[20:21], v[22:23], -v[20:21]
	s_mov_b32 s5, 0x3ff921fb
	v_add_f64 v[18:19], v[18:19], -v[20:21]
	v_mul_f64 v[20:21], v[22:23], s[4:5]
	s_mov_b32 s12, 0x33145c07
	v_fma_f64 v[24:25], v[22:23], s[4:5], -v[20:21]
	s_mov_b32 s13, 0x3c91a626
	v_fmac_f64_e32 v[24:25], s[12:13], v[22:23]
	v_fmac_f64_e32 v[24:25], s[4:5], v[18:19]
	v_add_f64 v[18:19], v[20:21], v[24:25]
	v_add_f64 v[20:21], v[18:19], -v[20:21]
	v_add_f64 v[20:21], v[24:25], -v[20:21]
	s_andn2_saveexec_b64 s[4:5], s[10:11]
	s_cbranch_execnz .LBB1_30
	s_branch .LBB1_31
.LBB1_29:
	s_andn2_saveexec_b64 s[4:5], s[10:11]
	s_cbranch_execz .LBB1_31
.LBB1_30:
	s_mov_b32 s10, 0x6dc9c883
	s_mov_b32 s11, 0x3fe45f30
	v_mul_f64 v[18:19], |v[8:9]|, s[10:11]
	s_mov_b32 s10, 0x54442d18
	v_rndne_f64_e32 v[22:23], v[18:19]
	s_mov_b32 s11, 0xbff921fb
	v_fma_f64 v[18:19], v[22:23], s[10:11], |v[8:9]|
	s_mov_b32 s11, 0xbc91a626
	s_mov_b32 s10, 0x33145c00
	v_mul_f64 v[24:25], v[22:23], s[10:11]
	v_add_f64 v[30:31], v[18:19], v[24:25]
	v_fma_f64 v[20:21], s[10:11], v[22:23], v[18:19]
	s_mov_b32 s11, 0x3c91a626
	v_add_f64 v[18:19], v[18:19], -v[30:31]
	v_fma_f64 v[26:27], s[10:11], v[22:23], v[24:25]
	v_add_f64 v[18:19], v[18:19], v[24:25]
	v_add_f64 v[24:25], v[30:31], -v[20:21]
	v_add_f64 v[18:19], v[24:25], v[18:19]
	s_mov_b32 s10, 0x252049c0
	v_add_f64 v[24:25], v[18:19], -v[26:27]
	s_mov_b32 s11, 0xb97b839a
	v_fmac_f64_e32 v[24:25], s[10:11], v[22:23]
	v_add_f64 v[18:19], v[20:21], v[24:25]
	v_add_f64 v[20:21], v[18:19], -v[20:21]
	v_add_f64 v[20:21], v[24:25], -v[20:21]
	v_cvt_i32_f64_e32 v30, v[22:23]
.LBB1_31:
	s_or_b64 exec, exec, s[4:5]
	s_mov_b32 s4, 0
	s_mov_b32 s5, 0x40390000
	v_div_scale_f64 v[22:23], s[10:11], v[12:13], v[12:13], s[4:5]
	v_rcp_f64_e32 v[24:25], v[22:23]
	v_mov_b32_e32 v34, 0xb1759c7f
	v_mov_b32_e32 v35, 0x408ac370
	;; [unrolled: 1-line block ×3, first 2 shown]
	v_fma_f64 v[26:27], -v[22:23], v[24:25], 1.0
	v_fmac_f64_e32 v[24:25], v[24:25], v[26:27]
	v_fma_f64 v[26:27], -v[22:23], v[24:25], 1.0
	v_fmac_f64_e32 v[24:25], v[24:25], v[26:27]
	v_div_scale_f64 v[26:27], vcc, s[4:5], v[12:13], s[4:5]
	v_mul_f64 v[32:33], v[26:27], v[24:25]
	v_fma_f64 v[22:23], -v[22:23], v[32:33], v[26:27]
	v_mov_b32_e32 v26, 0xab5454e3
	s_nop 0
	v_div_fmas_f64 v[22:23], v[22:23], v[24:25], v[32:33]
	v_div_fixup_f64 v[12:13], v[22:23], v[12:13], s[4:5]
	v_mov_b32_e32 v22, 0x983b6b27
	v_mov_b32_e32 v23, 0x3f4a1d30
	v_fmac_f64_e32 v[22:23], 0, v[12:13]
	v_mov_b32_e32 v24, 0xb35dd1cf
	v_mov_b32_e32 v25, 0x3fb534b0
	v_fmac_f64_e32 v[24:25], v[12:13], v[22:23]
	;; [unrolled: 3-line block ×7, first 2 shown]
	v_mov_b32_e32 v27, 0x3fb5ebc5
	v_fmac_f64_e32 v[26:27], v[12:13], v[22:23]
	v_mov_b32_e32 v22, 0xc9b3069f
	v_mov_b32_e32 v23, 0x3ff40e72
	v_fmac_f64_e32 v[22:23], v[12:13], v[26:27]
	v_mov_b32_e32 v26, 0xe68162bb
	;; [unrolled: 3-line block ×4, first 2 shown]
	v_mov_b32_e32 v27, 0x40153965
	v_fmac_f64_e32 v[26:27], v[12:13], v[22:23]
	v_fma_f64 v[22:23], v[12:13], v[26:27], 1.0
	v_mov_b32_e32 v26, 0x38a5384a
	v_mov_b32_e32 v27, 0xbf874742
	v_fmac_f64_e32 v[26:27], 0, v[12:13]
	v_mov_b32_e32 v32, 0x3a321174
	v_mov_b32_e32 v33, 0xbff4853b
	v_fmac_f64_e32 v[32:33], v[12:13], v[26:27]
	;; [unrolled: 3-line block ×9, first 2 shown]
	v_fmac_f64_e32 v[34:35], v[12:13], v[26:27]
	v_mov_b32_e32 v26, 0xbd748cb5
	v_mov_b32_e32 v27, 0x40ae54cd
	v_fmac_f64_e32 v[26:27], v[12:13], v[34:35]
	v_mov_b32_e32 v34, 0xbdefd63e
	v_mov_b32_e32 v35, 0x40bc4877
	v_fmac_f64_e32 v[34:35], v[12:13], v[26:27]
	v_mov_b32_e32 v26, 0x1d733b11
	v_mov_b32_e32 v27, 0x40b72aba
	v_fmac_f64_e32 v[26:27], v[12:13], v[34:35]
	v_mov_b32_e32 v34, 0xc7319e82
	v_mov_b32_e32 v35, 0x40a01c2f
	v_fma_f64 v[24:25], v[12:13], v[24:25], 1.0
	v_fmac_f64_e32 v[34:35], v[12:13], v[26:27]
	v_div_scale_f64 v[26:27], s[4:5], v[22:23], v[22:23], v[24:25]
	v_rcp_f64_e32 v[36:37], v[26:27]
	v_mov_b32_e32 v39, 0x406e402f
	v_fmac_f64_e32 v[38:39], v[12:13], v[34:35]
	s_mov_b32 s4, 0x9037ab78
	v_fma_f64 v[12:13], -v[26:27], v[36:37], 1.0
	v_fmac_f64_e32 v[36:37], v[36:37], v[12:13]
	v_fma_f64 v[12:13], -v[26:27], v[36:37], 1.0
	v_fmac_f64_e32 v[36:37], v[36:37], v[12:13]
	v_div_scale_f64 v[12:13], vcc, v[24:25], v[22:23], v[24:25]
	v_mul_f64 v[34:35], v[12:13], v[36:37]
	v_fma_f64 v[12:13], -v[26:27], v[34:35], v[12:13]
	s_mov_b32 s5, 0x3e21eeb6
	s_nop 0
	v_div_fmas_f64 v[12:13], v[12:13], v[36:37], v[34:35]
	s_mov_b32 s10, 0x46cc5e42
	v_div_fixup_f64 v[12:13], v[12:13], v[22:23], v[24:25]
	v_mul_f64 v[22:23], v[14:15], v[14:15]
	s_mov_b32 s11, 0xbda907db
	v_pk_mov_b32 v[36:37], s[4:5], s[4:5] op_sel:[0,1]
	s_mov_b32 s12, 0xa17f65f6
	v_mul_f64 v[24:25], v[22:23], 0.5
	v_fma_f64 v[48:49], s[10:11], v[22:23], v[36:37]
	s_mov_b32 s13, 0xbe927e4f
	s_mov_b32 s14, 0x19f4ec90
	v_add_f64 v[26:27], -v[24:25], 1.0
	v_fma_f64 v[48:49], v[22:23], v[48:49], s[12:13]
	s_mov_b32 s15, 0x3efa01a0
	s_mov_b32 s16, 0x16c16967
	v_add_f64 v[34:35], -v[26:27], 1.0
	v_fma_f64 v[48:49], v[22:23], v[48:49], s[14:15]
	s_mov_b32 s17, 0xbf56c16c
	s_mov_b32 s18, 0x55555555
	v_add_f64 v[24:25], v[34:35], -v[24:25]
	v_fma_f64 v[48:49], v[22:23], v[48:49], s[16:17]
	s_mov_b32 s19, 0x3fa55555
	v_mul_f64 v[34:35], v[22:23], v[22:23]
	v_fma_f64 v[48:49], v[22:23], v[48:49], s[18:19]
	v_fma_f64 v[24:25], v[14:15], -v[16:17], v[24:25]
	s_mov_b32 s4, 0xb42fdfa7
	v_fmac_f64_e32 v[24:25], v[34:35], v[48:49]
	s_mov_b32 s5, 0xbe5ae600
	s_mov_b32 s20, 0xf9a43bb8
	v_add_f64 v[24:25], v[26:27], v[24:25]
	s_mov_b32 s21, 0x3de5e0b2
	v_pk_mov_b32 v[26:27], s[4:5], s[4:5] op_sel:[0,1]
	s_mov_b32 s22, 0x796cde01
	v_fma_f64 v[34:35], s[20:21], v[22:23], v[26:27]
	s_mov_b32 s23, 0x3ec71de3
	s_mov_b32 s24, 0x19e83e5c
	v_fma_f64 v[34:35], v[22:23], v[34:35], s[22:23]
	s_mov_b32 s25, 0xbf2a01a0
	;; [unrolled: 3-line block ×3, first 2 shown]
	v_fma_f64 v[34:35], v[22:23], v[34:35], s[26:27]
	v_mul_f64 v[48:49], v[14:15], -v[22:23]
	v_mul_f64 v[50:51], v[16:17], 0.5
	v_fmac_f64_e32 v[50:51], v[48:49], v[34:35]
	v_fma_f64 v[16:17], v[22:23], v[50:51], -v[16:17]
	s_mov_b32 s29, 0xbfc55555
	s_mov_b32 s28, s18
	v_fmac_f64_e32 v[16:17], s[28:29], v[48:49]
	v_add_f64 v[14:15], v[14:15], -v[16:17]
	v_and_b32_e32 v16, 1, v29
	v_xor_b32_e32 v15, 0x80000000, v15
	v_cmp_eq_u32_e32 vcc, 0, v16
	v_cndmask_b32_e32 v22, v14, v24, vcc
	v_cndmask_b32_e32 v14, v15, v25, vcc
	v_lshlrev_b32_e32 v15, 30, v29
	s_mov_b32 s30, 0
	v_and_b32_e32 v15, 0x80000000, v15
	s_mov_b32 s31, 0xc0140000
	v_xor_b32_e32 v23, v14, v15
	v_div_scale_f64 v[14:15], s[4:5], v[10:11], v[10:11], s[30:31]
	v_rcp_f64_e32 v[16:17], v[14:15]
	s_movk_i32 vcc_lo, 0x1f8
	v_cmp_class_f64_e64 s[4:5], v[8:9], vcc_lo
	v_and_b32_e32 v8, 1, v30
	v_fma_f64 v[24:25], -v[14:15], v[16:17], 1.0
	v_fmac_f64_e32 v[16:17], v[16:17], v[24:25]
	v_fma_f64 v[24:25], -v[14:15], v[16:17], 1.0
	v_fmac_f64_e32 v[16:17], v[16:17], v[24:25]
	v_div_scale_f64 v[24:25], vcc, s[30:31], v[10:11], s[30:31]
	v_mul_f64 v[34:35], v[24:25], v[16:17]
	v_fma_f64 v[14:15], -v[14:15], v[34:35], v[24:25]
	v_div_scale_f64 v[24:25], s[34:35], v[38:39], v[38:39], v[32:33]
	v_rcp_f64_e32 v[48:49], v[24:25]
	v_div_fmas_f64 v[14:15], v[14:15], v[16:17], v[34:35]
	v_div_fixup_f64 v[14:15], v[14:15], v[10:11], s[30:31]
	v_mov_b32_e32 v29, 0x7ff80000
	v_fma_f64 v[16:17], -v[24:25], v[48:49], 1.0
	v_fmac_f64_e32 v[48:49], v[48:49], v[16:17]
	v_fma_f64 v[16:17], -v[24:25], v[48:49], 1.0
	v_fmac_f64_e32 v[48:49], v[48:49], v[16:17]
	v_div_scale_f64 v[16:17], vcc, v[32:33], v[38:39], v[32:33]
	v_mul_f64 v[34:35], v[16:17], v[48:49]
	v_fma_f64 v[16:17], -v[24:25], v[34:35], v[16:17]
	v_cndmask_b32_e64 v22, 0, v22, s[4:5]
	s_nop 0
	v_div_fmas_f64 v[16:17], v[16:17], v[48:49], v[34:35]
	v_div_fixup_f64 v[16:17], v[16:17], v[38:39], v[32:33]
	v_mul_f64 v[14:15], v[14:15], v[16:17]
	v_mul_f64 v[16:17], v[18:19], v[18:19]
	v_mul_f64 v[24:25], v[16:17], 0.5
	v_fmac_f64_e32 v[36:37], s[10:11], v[16:17]
	v_add_f64 v[32:33], -v[24:25], 1.0
	v_fma_f64 v[36:37], v[16:17], v[36:37], s[12:13]
	v_add_f64 v[34:35], -v[32:33], 1.0
	v_fma_f64 v[36:37], v[16:17], v[36:37], s[14:15]
	v_add_f64 v[24:25], v[34:35], -v[24:25]
	v_fma_f64 v[36:37], v[16:17], v[36:37], s[16:17]
	v_fmac_f64_e32 v[26:27], s[20:21], v[16:17]
	v_mul_f64 v[34:35], v[16:17], v[16:17]
	v_fma_f64 v[36:37], v[16:17], v[36:37], s[18:19]
	v_fma_f64 v[24:25], v[18:19], -v[20:21], v[24:25]
	v_fma_f64 v[26:27], v[16:17], v[26:27], s[22:23]
	v_fmac_f64_e32 v[24:25], v[34:35], v[36:37]
	v_fma_f64 v[26:27], v[16:17], v[26:27], s[24:25]
	v_add_f64 v[24:25], v[32:33], v[24:25]
	v_fma_f64 v[26:27], v[16:17], v[26:27], s[26:27]
	v_mul_f64 v[32:33], v[18:19], -v[16:17]
	v_mul_f64 v[34:35], v[20:21], 0.5
	v_fmac_f64_e32 v[34:35], v[32:33], v[26:27]
	v_fma_f64 v[16:17], v[16:17], v[34:35], -v[20:21]
	v_fmac_f64_e32 v[16:17], s[28:29], v[32:33]
	v_add_f64 v[16:17], v[18:19], -v[16:17]
	v_cmp_eq_u32_e32 vcc, 0, v8
	v_cndmask_b32_e32 v8, v24, v16, vcc
	v_cndmask_b32_e32 v16, v25, v17, vcc
	v_lshlrev_b32_e32 v17, 30, v30
	v_xor_b32_e32 v9, v17, v9
	v_and_b32_e32 v9, 0x80000000, v9
	v_xor_b32_e32 v9, v16, v9
	v_cndmask_b32_e64 v23, v29, v23, s[4:5]
	v_cndmask_b32_e64 v8, 0, v8, s[4:5]
	v_cndmask_b32_e64 v9, v29, v9, s[4:5]
	s_mov_b32 s4, 0
	s_brev_b32 s5, 8
	v_mul_f64 v[8:9], v[14:15], v[8:9]
	v_cmp_gt_f64_e32 vcc, s[4:5], v[10:11]
	v_fmac_f64_e32 v[8:9], v[12:13], v[22:23]
	v_cndmask_b32_e64 v12, 0, 1, vcc
	v_lshlrev_b32_e32 v12, 8, v12
	v_ldexp_f64 v[10:11], v[10:11], v12
	v_rsq_f64_e32 v[12:13], v[10:11]
	s_mov_b32 s4, 0x33d43651
	s_mov_b32 s5, 0x3fe98845
	v_mul_f64 v[8:9], v[8:9], s[4:5]
	v_mul_f64 v[14:15], v[10:11], v[12:13]
	v_mul_f64 v[12:13], v[12:13], 0.5
	v_fma_f64 v[16:17], -v[12:13], v[14:15], 0.5
	v_fmac_f64_e32 v[14:15], v[14:15], v[16:17]
	v_fma_f64 v[18:19], -v[14:15], v[14:15], v[10:11]
	v_fmac_f64_e32 v[12:13], v[12:13], v[16:17]
	v_fmac_f64_e32 v[14:15], v[18:19], v[12:13]
	v_fma_f64 v[16:17], -v[14:15], v[14:15], v[10:11]
	v_fmac_f64_e32 v[14:15], v[16:17], v[12:13]
	v_mov_b32_e32 v12, 0xffffff80
	v_cndmask_b32_e32 v12, 0, v12, vcc
	v_ldexp_f64 v[12:13], v[14:15], v12
	v_mov_b32_e32 v14, 0x260
	v_cmp_class_f64_e32 vcc, v[10:11], v14
	v_cndmask_b32_e32 v11, v13, v11, vcc
	v_cndmask_b32_e32 v10, v12, v10, vcc
	v_div_scale_f64 v[12:13], s[4:5], v[10:11], v[10:11], v[8:9]
	v_rcp_f64_e32 v[14:15], v[12:13]
	v_fma_f64 v[16:17], -v[12:13], v[14:15], 1.0
	v_fmac_f64_e32 v[14:15], v[14:15], v[16:17]
	v_fma_f64 v[16:17], -v[12:13], v[14:15], 1.0
	v_fmac_f64_e32 v[14:15], v[14:15], v[16:17]
	v_div_scale_f64 v[16:17], vcc, v[8:9], v[10:11], v[8:9]
	v_mul_f64 v[18:19], v[16:17], v[14:15]
	v_fma_f64 v[12:13], -v[12:13], v[18:19], v[16:17]
	s_nop 1
	v_div_fmas_f64 v[12:13], v[12:13], v[14:15], v[18:19]
	v_div_fixup_f64 v[8:9], v[12:13], v[10:11], v[8:9]
.LBB1_32:
	s_or_b64 exec, exec, s[8:9]
	v_xor_b32_e32 v10, 0x80000000, v3
	v_cmp_gt_f64_e32 vcc, 0, v[2:3]
	s_mov_b32 s4, 0
	v_cndmask_b32_e32 v3, v3, v10, vcc
	s_mov_b32 s5, 0x40140000
	v_cmp_ge_f64_e32 vcc, s[4:5], v[2:3]
	v_mul_f64 v[12:13], v[2:3], v[2:3]
                                        ; implicit-def: $vgpr10_vgpr11
	s_and_saveexec_b64 s[4:5], vcc
	s_xor_b64 s[4:5], exec, s[4:5]
	s_cbranch_execz .LBB1_38
; %bb.33:
	s_mov_b32 s8, 0x88e368f1
	s_mov_b32 s9, 0x3ee4f8b5
	v_cmp_ngt_f64_e32 vcc, s[8:9], v[2:3]
                                        ; implicit-def: $vgpr10_vgpr11
	s_and_saveexec_b64 s[8:9], vcc
	s_xor_b64 s[8:9], exec, s[8:9]
	s_cbranch_execz .LBB1_35
; %bb.34:
	v_mov_b32_e32 v10, 0xad1c8325
	v_mov_b32_e32 v11, 0xc1f1dc53
	v_fmac_f64_e32 v[10:11], 0, v[12:13]
	v_mov_b32_e32 v14, 0xc772990d
	v_mov_b32_e32 v15, 0x427c7751
	v_fmac_f64_e32 v[14:15], v[12:13], v[10:11]
	;; [unrolled: 3-line block ×10, first 2 shown]
	v_mov_b32_e32 v16, 0xc7b662cc
	v_mov_b32_e32 v17, 0x43b7be34
	s_mov_b32 s10, 0x80462bbb
	v_fmac_f64_e32 v[16:17], v[12:13], v[14:15]
	v_mov_b32_e32 v14, 0x69ff5fb4
	v_mov_b32_e32 v15, 0x43413ef8
	s_mov_b32 s11, 0xc01721fb
	v_fmac_f64_e32 v[14:15], v[12:13], v[10:11]
	v_add_f64 v[10:11], v[12:13], s[10:11]
	s_mov_b32 s10, 0xa621dd6f
	s_mov_b32 s11, 0xc03e78a4
	v_add_f64 v[12:13], v[12:13], s[10:11]
	v_mul_f64 v[10:11], v[10:11], v[12:13]
	v_mul_f64 v[10:11], v[10:11], v[14:15]
	v_div_scale_f64 v[12:13], s[10:11], v[16:17], v[16:17], v[10:11]
	v_rcp_f64_e32 v[14:15], v[12:13]
	v_fma_f64 v[18:19], -v[12:13], v[14:15], 1.0
	v_fmac_f64_e32 v[14:15], v[14:15], v[18:19]
	v_fma_f64 v[18:19], -v[12:13], v[14:15], 1.0
	v_fmac_f64_e32 v[14:15], v[14:15], v[18:19]
	v_div_scale_f64 v[18:19], vcc, v[10:11], v[16:17], v[10:11]
	v_mul_f64 v[20:21], v[18:19], v[14:15]
	v_fma_f64 v[12:13], -v[12:13], v[20:21], v[18:19]
	s_nop 1
	v_div_fmas_f64 v[12:13], v[12:13], v[14:15], v[20:21]
	v_div_fixup_f64 v[10:11], v[12:13], v[16:17], v[10:11]
                                        ; implicit-def: $vgpr12_vgpr13
.LBB1_35:
	s_andn2_saveexec_b64 s[8:9], s[8:9]
; %bb.36:
	s_mov_b32 s10, 0
	s_mov_b32 s11, 0xbfd00000
	v_fma_f64 v[10:11], v[12:13], s[10:11], 1.0
; %bb.37:
	s_or_b64 exec, exec, s[8:9]
                                        ; implicit-def: $vgpr12_vgpr13
.LBB1_38:
	s_andn2_saveexec_b64 s[8:9], s[4:5]
	s_cbranch_execz .LBB1_48
; %bb.39:
	s_mov_b32 s13, 0xbfe921fb
	s_mov_b32 s12, 0x54442d18
	;; [unrolled: 1-line block ×3, first 2 shown]
	v_add_f64 v[10:11], v[2:3], s[12:13]
	s_mov_b32 s5, 0x41d00000
	v_cmp_nlt_f64_e64 s[10:11], |v[10:11]|, s[4:5]
	v_trig_preop_f64 v[26:27], |v[10:11]|, 0
	v_trig_preop_f64 v[24:25], |v[10:11]|, 1
	;; [unrolled: 1-line block ×3, first 2 shown]
                                        ; implicit-def: $vgpr29
                                        ; implicit-def: $vgpr14_vgpr15
                                        ; implicit-def: $vgpr16_vgpr17
	s_and_saveexec_b64 s[4:5], s[10:11]
	s_xor_b64 s[14:15], exec, s[4:5]
	s_cbranch_execz .LBB1_41
; %bb.40:
	s_mov_b32 s4, 0
	s_mov_b32 s5, 0x7b000000
	s_movk_i32 s13, 0xff80
	v_and_b32_e32 v16, 0x7fffffff, v11
	v_ldexp_f64 v[14:15], |v[10:11]|, s13
	v_cmp_ge_f64_e64 vcc, |v[10:11]|, s[4:5]
	v_cndmask_b32_e32 v15, v16, v15, vcc
	v_cndmask_b32_e32 v14, v10, v14, vcc
	v_mul_f64 v[18:19], v[26:27], v[14:15]
	v_mul_f64 v[16:17], v[24:25], v[14:15]
	v_fma_f64 v[20:21], v[26:27], v[14:15], -v[18:19]
	v_add_f64 v[30:31], v[16:17], v[20:21]
	v_add_f64 v[32:33], v[18:19], v[30:31]
	s_mov_b32 s4, 0
	v_ldexp_f64 v[34:35], v[32:33], -2
	s_mov_b32 s5, 0x7ff00000
	v_fract_f64_e32 v[36:37], v[34:35]
	v_cmp_neq_f64_e64 vcc, |v[34:35]|, s[4:5]
	v_cndmask_b32_e32 v35, 0, v37, vcc
	v_cndmask_b32_e32 v34, 0, v36, vcc
	v_add_f64 v[36:37], v[30:31], -v[16:17]
	v_add_f64 v[20:21], v[20:21], -v[36:37]
	;; [unrolled: 1-line block ×4, first 2 shown]
	v_add_f64 v[20:21], v[20:21], v[36:37]
	v_fma_f64 v[16:17], v[24:25], v[14:15], -v[16:17]
	v_mul_f64 v[36:37], v[22:23], v[14:15]
	v_add_f64 v[48:49], v[36:37], v[16:17]
	v_add_f64 v[50:51], v[48:49], v[20:21]
	v_add_f64 v[18:19], v[32:33], -v[18:19]
	v_add_f64 v[32:33], v[50:51], -v[48:49]
	;; [unrolled: 1-line block ×5, first 2 shown]
	v_add_f64 v[20:21], v[20:21], v[32:33]
	v_add_f64 v[32:33], v[48:49], -v[36:37]
	v_add_f64 v[16:17], v[16:17], -v[32:33]
	;; [unrolled: 1-line block ×5, first 2 shown]
	v_add_f64 v[30:31], v[18:19], v[50:51]
	v_add_f64 v[16:17], v[16:17], v[32:33]
	v_add_f64 v[18:19], v[30:31], -v[18:19]
	v_add_f64 v[16:17], v[16:17], v[20:21]
	v_fma_f64 v[14:15], v[22:23], v[14:15], -v[36:37]
	v_add_f64 v[18:19], v[50:51], -v[18:19]
	v_add_f64 v[14:15], v[14:15], v[16:17]
	v_ldexp_f64 v[16:17], v[34:35], 2
	v_add_f64 v[14:15], v[18:19], v[14:15]
	v_add_f64 v[18:19], v[30:31], v[16:17]
	v_mov_b32_e32 v20, 0x40100000
	v_cmp_gt_f64_e32 vcc, 0, v[18:19]
	v_mov_b32_e32 v38, 0
	v_cndmask_b32_e32 v39, 0, v20, vcc
	v_add_f64 v[16:17], v[16:17], v[38:39]
	v_add_f64 v[18:19], v[30:31], v[16:17]
	v_cvt_i32_f64_e32 v20, v[18:19]
	v_cvt_f64_i32_e32 v[18:19], v20
	v_add_f64 v[16:17], v[16:17], -v[18:19]
	v_add_f64 v[18:19], v[30:31], v[16:17]
	v_add_f64 v[16:17], v[18:19], -v[16:17]
	v_add_f64 v[16:17], v[30:31], -v[16:17]
	v_add_f64 v[14:15], v[14:15], v[16:17]
	v_cmp_le_f64_e32 vcc, 0.5, v[18:19]
	v_mov_b32_e32 v16, 0x3ff00000
	v_cndmask_b32_e32 v39, 0, v16, vcc
	v_add_f64 v[16:17], v[18:19], -v[38:39]
	v_add_f64 v[18:19], v[16:17], v[14:15]
	v_addc_co_u32_e64 v29, s[4:5], 0, v20, vcc
	v_add_f64 v[16:17], v[18:19], -v[16:17]
	s_mov_b32 s13, 0x3ff921fb
	v_add_f64 v[14:15], v[14:15], -v[16:17]
	v_mul_f64 v[16:17], v[18:19], s[12:13]
	s_mov_b32 s4, 0x33145c07
	v_fma_f64 v[20:21], v[18:19], s[12:13], -v[16:17]
	s_mov_b32 s5, 0x3c91a626
	v_fmac_f64_e32 v[20:21], s[4:5], v[18:19]
	v_fmac_f64_e32 v[20:21], s[12:13], v[14:15]
	v_add_f64 v[14:15], v[16:17], v[20:21]
	v_add_f64 v[16:17], v[14:15], -v[16:17]
	v_add_f64 v[16:17], v[20:21], -v[16:17]
	s_andn2_saveexec_b64 s[4:5], s[14:15]
	s_cbranch_execz .LBB1_43
	s_branch .LBB1_42
.LBB1_41:
	s_andn2_saveexec_b64 s[4:5], s[14:15]
	s_cbranch_execz .LBB1_43
.LBB1_42:
	s_mov_b32 s12, 0x6dc9c883
	s_mov_b32 s13, 0x3fe45f30
	v_mul_f64 v[14:15], |v[10:11]|, s[12:13]
	s_mov_b32 s12, 0x54442d18
	v_rndne_f64_e32 v[18:19], v[14:15]
	s_mov_b32 s13, 0xbff921fb
	v_fma_f64 v[14:15], v[18:19], s[12:13], |v[10:11]|
	s_mov_b32 s13, 0xbc91a626
	s_mov_b32 s12, 0x33145c00
	v_mul_f64 v[20:21], v[18:19], s[12:13]
	v_add_f64 v[32:33], v[14:15], v[20:21]
	v_fma_f64 v[16:17], s[12:13], v[18:19], v[14:15]
	s_mov_b32 s13, 0x3c91a626
	v_add_f64 v[14:15], v[14:15], -v[32:33]
	v_fma_f64 v[30:31], s[12:13], v[18:19], v[20:21]
	v_add_f64 v[14:15], v[14:15], v[20:21]
	v_add_f64 v[20:21], v[32:33], -v[16:17]
	v_add_f64 v[14:15], v[20:21], v[14:15]
	s_mov_b32 s12, 0x252049c0
	v_add_f64 v[20:21], v[14:15], -v[30:31]
	s_mov_b32 s13, 0xb97b839a
	v_fmac_f64_e32 v[20:21], s[12:13], v[18:19]
	v_add_f64 v[14:15], v[16:17], v[20:21]
	v_add_f64 v[16:17], v[14:15], -v[16:17]
	v_add_f64 v[16:17], v[20:21], -v[16:17]
	v_cvt_i32_f64_e32 v29, v[18:19]
.LBB1_43:
	s_or_b64 exec, exec, s[4:5]
                                        ; implicit-def: $vgpr30
                                        ; implicit-def: $vgpr18_vgpr19
                                        ; implicit-def: $vgpr20_vgpr21
	s_and_saveexec_b64 s[4:5], s[10:11]
	s_xor_b64 s[10:11], exec, s[4:5]
	s_cbranch_execz .LBB1_45
; %bb.44:
	s_mov_b32 s4, 0
	s_mov_b32 s5, 0x7b000000
	s_movk_i32 s12, 0xff80
	v_and_b32_e32 v20, 0x7fffffff, v11
	v_ldexp_f64 v[18:19], |v[10:11]|, s12
	v_cmp_ge_f64_e64 vcc, |v[10:11]|, s[4:5]
	v_cndmask_b32_e32 v19, v20, v19, vcc
	v_cndmask_b32_e32 v18, v10, v18, vcc
	v_mul_f64 v[30:31], v[26:27], v[18:19]
	v_mul_f64 v[20:21], v[24:25], v[18:19]
	v_fma_f64 v[26:27], v[26:27], v[18:19], -v[30:31]
	v_add_f64 v[32:33], v[20:21], v[26:27]
	v_add_f64 v[34:35], v[30:31], v[32:33]
	s_mov_b32 s4, 0
	v_ldexp_f64 v[36:37], v[34:35], -2
	s_mov_b32 s5, 0x7ff00000
	v_fract_f64_e32 v[38:39], v[36:37]
	v_cmp_neq_f64_e64 vcc, |v[36:37]|, s[4:5]
	v_cndmask_b32_e32 v37, 0, v39, vcc
	v_cndmask_b32_e32 v36, 0, v38, vcc
	v_add_f64 v[38:39], v[32:33], -v[20:21]
	v_add_f64 v[26:27], v[26:27], -v[38:39]
	;; [unrolled: 1-line block ×4, first 2 shown]
	v_fma_f64 v[20:21], v[24:25], v[18:19], -v[20:21]
	v_mul_f64 v[24:25], v[22:23], v[18:19]
	v_add_f64 v[26:27], v[26:27], v[38:39]
	v_add_f64 v[38:39], v[24:25], v[20:21]
	;; [unrolled: 1-line block ×3, first 2 shown]
	v_add_f64 v[30:31], v[34:35], -v[30:31]
	v_add_f64 v[34:35], v[50:51], -v[38:39]
	;; [unrolled: 1-line block ×5, first 2 shown]
	v_add_f64 v[26:27], v[26:27], v[34:35]
	v_add_f64 v[34:35], v[38:39], -v[24:25]
	v_add_f64 v[20:21], v[20:21], -v[34:35]
	;; [unrolled: 1-line block ×4, first 2 shown]
	v_add_f64 v[20:21], v[20:21], v[34:35]
	v_add_f64 v[30:31], v[32:33], -v[30:31]
	v_add_f64 v[20:21], v[20:21], v[26:27]
	v_fma_f64 v[18:19], v[22:23], v[18:19], -v[24:25]
	v_add_f64 v[32:33], v[30:31], v[50:51]
	v_add_f64 v[18:19], v[18:19], v[20:21]
	v_ldexp_f64 v[20:21], v[36:37], 2
	v_add_f64 v[22:23], v[32:33], v[20:21]
	v_mov_b32_e32 v24, 0x40100000
	v_cmp_gt_f64_e32 vcc, 0, v[22:23]
	v_mov_b32_e32 v48, 0
	v_cndmask_b32_e32 v49, 0, v24, vcc
	v_add_f64 v[20:21], v[20:21], v[48:49]
	v_add_f64 v[22:23], v[32:33], v[20:21]
	v_cvt_i32_f64_e32 v24, v[22:23]
	v_cvt_f64_i32_e32 v[22:23], v24
	v_add_f64 v[20:21], v[20:21], -v[22:23]
	v_add_f64 v[30:31], v[32:33], -v[30:31]
	v_add_f64 v[22:23], v[32:33], v[20:21]
	v_add_f64 v[30:31], v[50:51], -v[30:31]
	v_add_f64 v[20:21], v[22:23], -v[20:21]
	v_add_f64 v[18:19], v[30:31], v[18:19]
	v_add_f64 v[20:21], v[32:33], -v[20:21]
	v_add_f64 v[18:19], v[18:19], v[20:21]
	v_cmp_le_f64_e32 vcc, 0.5, v[22:23]
	v_mov_b32_e32 v20, 0x3ff00000
	v_cndmask_b32_e32 v49, 0, v20, vcc
	v_addc_co_u32_e64 v30, s[4:5], 0, v24, vcc
	v_add_f64 v[20:21], v[22:23], -v[48:49]
	v_add_f64 v[22:23], v[20:21], v[18:19]
	s_mov_b32 s4, 0x54442d18
	v_add_f64 v[20:21], v[22:23], -v[20:21]
	s_mov_b32 s5, 0x3ff921fb
	v_add_f64 v[18:19], v[18:19], -v[20:21]
	v_mul_f64 v[20:21], v[22:23], s[4:5]
	s_mov_b32 s12, 0x33145c07
	v_fma_f64 v[24:25], v[22:23], s[4:5], -v[20:21]
	s_mov_b32 s13, 0x3c91a626
	v_fmac_f64_e32 v[24:25], s[12:13], v[22:23]
	v_fmac_f64_e32 v[24:25], s[4:5], v[18:19]
	v_add_f64 v[18:19], v[20:21], v[24:25]
	v_add_f64 v[20:21], v[18:19], -v[20:21]
	v_add_f64 v[20:21], v[24:25], -v[20:21]
	s_andn2_saveexec_b64 s[4:5], s[10:11]
	s_cbranch_execnz .LBB1_46
	s_branch .LBB1_47
.LBB1_45:
	s_andn2_saveexec_b64 s[4:5], s[10:11]
	s_cbranch_execz .LBB1_47
.LBB1_46:
	s_mov_b32 s10, 0x6dc9c883
	s_mov_b32 s11, 0x3fe45f30
	v_mul_f64 v[18:19], |v[10:11]|, s[10:11]
	s_mov_b32 s10, 0x54442d18
	v_rndne_f64_e32 v[22:23], v[18:19]
	s_mov_b32 s11, 0xbff921fb
	v_fma_f64 v[18:19], v[22:23], s[10:11], |v[10:11]|
	s_mov_b32 s11, 0xbc91a626
	s_mov_b32 s10, 0x33145c00
	v_mul_f64 v[24:25], v[22:23], s[10:11]
	v_add_f64 v[30:31], v[18:19], v[24:25]
	v_fma_f64 v[20:21], s[10:11], v[22:23], v[18:19]
	s_mov_b32 s11, 0x3c91a626
	v_add_f64 v[18:19], v[18:19], -v[30:31]
	v_fma_f64 v[26:27], s[10:11], v[22:23], v[24:25]
	v_add_f64 v[18:19], v[18:19], v[24:25]
	v_add_f64 v[24:25], v[30:31], -v[20:21]
	v_add_f64 v[18:19], v[24:25], v[18:19]
	s_mov_b32 s10, 0x252049c0
	v_add_f64 v[24:25], v[18:19], -v[26:27]
	s_mov_b32 s11, 0xb97b839a
	v_fmac_f64_e32 v[24:25], s[10:11], v[22:23]
	v_add_f64 v[18:19], v[20:21], v[24:25]
	v_add_f64 v[20:21], v[18:19], -v[20:21]
	v_add_f64 v[20:21], v[24:25], -v[20:21]
	v_cvt_i32_f64_e32 v30, v[22:23]
.LBB1_47:
	s_or_b64 exec, exec, s[4:5]
	s_mov_b32 s4, 0
	s_mov_b32 s5, 0x40390000
	v_div_scale_f64 v[22:23], s[10:11], v[12:13], v[12:13], s[4:5]
	v_rcp_f64_e32 v[24:25], v[22:23]
	v_mov_b32_e32 v34, 0xb1759c7f
	v_mov_b32_e32 v35, 0x408ac370
	;; [unrolled: 1-line block ×3, first 2 shown]
	v_fma_f64 v[26:27], -v[22:23], v[24:25], 1.0
	v_fmac_f64_e32 v[24:25], v[24:25], v[26:27]
	v_fma_f64 v[26:27], -v[22:23], v[24:25], 1.0
	v_fmac_f64_e32 v[24:25], v[24:25], v[26:27]
	v_div_scale_f64 v[26:27], vcc, s[4:5], v[12:13], s[4:5]
	v_mul_f64 v[32:33], v[26:27], v[24:25]
	v_fma_f64 v[22:23], -v[22:23], v[32:33], v[26:27]
	v_mov_b32_e32 v26, 0xab5454e3
	s_nop 0
	v_div_fmas_f64 v[22:23], v[22:23], v[24:25], v[32:33]
	v_div_fixup_f64 v[12:13], v[22:23], v[12:13], s[4:5]
	v_mov_b32_e32 v22, 0x983b6b27
	v_mov_b32_e32 v23, 0x3f4a1d30
	v_fmac_f64_e32 v[22:23], 0, v[12:13]
	v_mov_b32_e32 v24, 0xb35dd1cf
	v_mov_b32_e32 v25, 0x3fb534b0
	v_fmac_f64_e32 v[24:25], v[12:13], v[22:23]
	;; [unrolled: 3-line block ×7, first 2 shown]
	v_mov_b32_e32 v27, 0x3fb5ebc5
	v_fmac_f64_e32 v[26:27], v[12:13], v[22:23]
	v_mov_b32_e32 v22, 0xc9b3069f
	v_mov_b32_e32 v23, 0x3ff40e72
	v_fmac_f64_e32 v[22:23], v[12:13], v[26:27]
	v_mov_b32_e32 v26, 0xe68162bb
	;; [unrolled: 3-line block ×4, first 2 shown]
	v_mov_b32_e32 v27, 0x40153965
	v_fmac_f64_e32 v[26:27], v[12:13], v[22:23]
	v_fma_f64 v[22:23], v[12:13], v[26:27], 1.0
	v_mov_b32_e32 v26, 0x38a5384a
	v_mov_b32_e32 v27, 0xbf874742
	v_fmac_f64_e32 v[26:27], 0, v[12:13]
	v_mov_b32_e32 v32, 0x3a321174
	v_mov_b32_e32 v33, 0xbff4853b
	v_fmac_f64_e32 v[32:33], v[12:13], v[26:27]
	;; [unrolled: 3-line block ×9, first 2 shown]
	v_fmac_f64_e32 v[34:35], v[12:13], v[26:27]
	v_mov_b32_e32 v26, 0xbd748cb5
	v_mov_b32_e32 v27, 0x40ae54cd
	v_fmac_f64_e32 v[26:27], v[12:13], v[34:35]
	v_mov_b32_e32 v34, 0xbdefd63e
	v_mov_b32_e32 v35, 0x40bc4877
	;; [unrolled: 3-line block ×4, first 2 shown]
	v_fma_f64 v[24:25], v[12:13], v[24:25], 1.0
	v_fmac_f64_e32 v[34:35], v[12:13], v[26:27]
	v_div_scale_f64 v[26:27], s[4:5], v[22:23], v[22:23], v[24:25]
	v_rcp_f64_e32 v[36:37], v[26:27]
	v_mov_b32_e32 v39, 0x406e402f
	v_fmac_f64_e32 v[38:39], v[12:13], v[34:35]
	s_mov_b32 s4, 0x9037ab78
	v_fma_f64 v[12:13], -v[26:27], v[36:37], 1.0
	v_fmac_f64_e32 v[36:37], v[36:37], v[12:13]
	v_fma_f64 v[12:13], -v[26:27], v[36:37], 1.0
	v_fmac_f64_e32 v[36:37], v[36:37], v[12:13]
	v_div_scale_f64 v[12:13], vcc, v[24:25], v[22:23], v[24:25]
	v_mul_f64 v[34:35], v[12:13], v[36:37]
	v_fma_f64 v[12:13], -v[26:27], v[34:35], v[12:13]
	s_mov_b32 s5, 0x3e21eeb6
	s_nop 0
	v_div_fmas_f64 v[12:13], v[12:13], v[36:37], v[34:35]
	s_mov_b32 s10, 0x46cc5e42
	v_div_fixup_f64 v[12:13], v[12:13], v[22:23], v[24:25]
	v_mul_f64 v[22:23], v[14:15], v[14:15]
	s_mov_b32 s11, 0xbda907db
	v_pk_mov_b32 v[36:37], s[4:5], s[4:5] op_sel:[0,1]
	s_mov_b32 s12, 0xa17f65f6
	v_mul_f64 v[24:25], v[22:23], 0.5
	v_fma_f64 v[48:49], s[10:11], v[22:23], v[36:37]
	s_mov_b32 s13, 0xbe927e4f
	s_mov_b32 s14, 0x19f4ec90
	v_add_f64 v[26:27], -v[24:25], 1.0
	v_fma_f64 v[48:49], v[22:23], v[48:49], s[12:13]
	s_mov_b32 s15, 0x3efa01a0
	s_mov_b32 s16, 0x16c16967
	v_add_f64 v[34:35], -v[26:27], 1.0
	v_fma_f64 v[48:49], v[22:23], v[48:49], s[14:15]
	s_mov_b32 s17, 0xbf56c16c
	s_mov_b32 s18, 0x55555555
	v_add_f64 v[24:25], v[34:35], -v[24:25]
	v_fma_f64 v[48:49], v[22:23], v[48:49], s[16:17]
	s_mov_b32 s19, 0x3fa55555
	v_mul_f64 v[34:35], v[22:23], v[22:23]
	v_fma_f64 v[48:49], v[22:23], v[48:49], s[18:19]
	v_fma_f64 v[24:25], v[14:15], -v[16:17], v[24:25]
	s_mov_b32 s4, 0xb42fdfa7
	v_fmac_f64_e32 v[24:25], v[34:35], v[48:49]
	s_mov_b32 s5, 0xbe5ae600
	s_mov_b32 s20, 0xf9a43bb8
	v_add_f64 v[24:25], v[26:27], v[24:25]
	s_mov_b32 s21, 0x3de5e0b2
	v_pk_mov_b32 v[26:27], s[4:5], s[4:5] op_sel:[0,1]
	s_mov_b32 s22, 0x796cde01
	v_fma_f64 v[34:35], s[20:21], v[22:23], v[26:27]
	s_mov_b32 s23, 0x3ec71de3
	s_mov_b32 s24, 0x19e83e5c
	v_fma_f64 v[34:35], v[22:23], v[34:35], s[22:23]
	s_mov_b32 s25, 0xbf2a01a0
	;; [unrolled: 3-line block ×3, first 2 shown]
	v_fma_f64 v[34:35], v[22:23], v[34:35], s[26:27]
	v_mul_f64 v[48:49], v[14:15], -v[22:23]
	v_mul_f64 v[50:51], v[16:17], 0.5
	v_fmac_f64_e32 v[50:51], v[48:49], v[34:35]
	v_fma_f64 v[16:17], v[22:23], v[50:51], -v[16:17]
	s_mov_b32 s29, 0xbfc55555
	s_mov_b32 s28, s18
	v_fmac_f64_e32 v[16:17], s[28:29], v[48:49]
	v_add_f64 v[14:15], v[14:15], -v[16:17]
	v_and_b32_e32 v16, 1, v29
	v_xor_b32_e32 v15, 0x80000000, v15
	v_cmp_eq_u32_e32 vcc, 0, v16
	v_cndmask_b32_e32 v22, v14, v24, vcc
	v_cndmask_b32_e32 v14, v15, v25, vcc
	v_lshlrev_b32_e32 v15, 30, v29
	s_mov_b32 s30, 0
	v_and_b32_e32 v15, 0x80000000, v15
	s_mov_b32 s31, 0xc0140000
	v_xor_b32_e32 v23, v14, v15
	v_div_scale_f64 v[14:15], s[4:5], v[2:3], v[2:3], s[30:31]
	v_rcp_f64_e32 v[16:17], v[14:15]
	s_movk_i32 vcc_lo, 0x1f8
	v_cmp_class_f64_e64 s[4:5], v[10:11], vcc_lo
	v_and_b32_e32 v10, 1, v30
	v_fma_f64 v[24:25], -v[14:15], v[16:17], 1.0
	v_fmac_f64_e32 v[16:17], v[16:17], v[24:25]
	v_fma_f64 v[24:25], -v[14:15], v[16:17], 1.0
	v_fmac_f64_e32 v[16:17], v[16:17], v[24:25]
	v_div_scale_f64 v[24:25], vcc, s[30:31], v[2:3], s[30:31]
	v_mul_f64 v[34:35], v[24:25], v[16:17]
	v_fma_f64 v[14:15], -v[14:15], v[34:35], v[24:25]
	v_div_scale_f64 v[24:25], s[34:35], v[38:39], v[38:39], v[32:33]
	v_rcp_f64_e32 v[48:49], v[24:25]
	v_div_fmas_f64 v[14:15], v[14:15], v[16:17], v[34:35]
	v_div_fixup_f64 v[14:15], v[14:15], v[2:3], s[30:31]
	v_mov_b32_e32 v29, 0x7ff80000
	v_fma_f64 v[16:17], -v[24:25], v[48:49], 1.0
	v_fmac_f64_e32 v[48:49], v[48:49], v[16:17]
	v_fma_f64 v[16:17], -v[24:25], v[48:49], 1.0
	v_fmac_f64_e32 v[48:49], v[48:49], v[16:17]
	v_div_scale_f64 v[16:17], vcc, v[32:33], v[38:39], v[32:33]
	v_mul_f64 v[34:35], v[16:17], v[48:49]
	v_fma_f64 v[16:17], -v[24:25], v[34:35], v[16:17]
	v_cndmask_b32_e64 v22, 0, v22, s[4:5]
	s_nop 0
	v_div_fmas_f64 v[16:17], v[16:17], v[48:49], v[34:35]
	v_div_fixup_f64 v[16:17], v[16:17], v[38:39], v[32:33]
	v_mul_f64 v[14:15], v[14:15], v[16:17]
	v_mul_f64 v[16:17], v[18:19], v[18:19]
	v_mul_f64 v[24:25], v[16:17], 0.5
	v_fmac_f64_e32 v[36:37], s[10:11], v[16:17]
	v_add_f64 v[32:33], -v[24:25], 1.0
	v_fma_f64 v[36:37], v[16:17], v[36:37], s[12:13]
	v_add_f64 v[34:35], -v[32:33], 1.0
	v_fma_f64 v[36:37], v[16:17], v[36:37], s[14:15]
	v_add_f64 v[24:25], v[34:35], -v[24:25]
	v_fma_f64 v[36:37], v[16:17], v[36:37], s[16:17]
	v_fmac_f64_e32 v[26:27], s[20:21], v[16:17]
	v_mul_f64 v[34:35], v[16:17], v[16:17]
	v_fma_f64 v[36:37], v[16:17], v[36:37], s[18:19]
	v_fma_f64 v[24:25], v[18:19], -v[20:21], v[24:25]
	v_fma_f64 v[26:27], v[16:17], v[26:27], s[22:23]
	v_fmac_f64_e32 v[24:25], v[34:35], v[36:37]
	v_fma_f64 v[26:27], v[16:17], v[26:27], s[24:25]
	v_add_f64 v[24:25], v[32:33], v[24:25]
	v_fma_f64 v[26:27], v[16:17], v[26:27], s[26:27]
	v_mul_f64 v[32:33], v[18:19], -v[16:17]
	v_mul_f64 v[34:35], v[20:21], 0.5
	v_fmac_f64_e32 v[34:35], v[32:33], v[26:27]
	v_fma_f64 v[16:17], v[16:17], v[34:35], -v[20:21]
	v_fmac_f64_e32 v[16:17], s[28:29], v[32:33]
	v_add_f64 v[16:17], v[18:19], -v[16:17]
	v_cmp_eq_u32_e32 vcc, 0, v10
	v_cndmask_b32_e32 v10, v24, v16, vcc
	v_cndmask_b32_e32 v16, v25, v17, vcc
	v_lshlrev_b32_e32 v17, 30, v30
	v_xor_b32_e32 v11, v17, v11
	v_and_b32_e32 v11, 0x80000000, v11
	v_xor_b32_e32 v11, v16, v11
	v_cndmask_b32_e64 v23, v29, v23, s[4:5]
	v_cndmask_b32_e64 v10, 0, v10, s[4:5]
	;; [unrolled: 1-line block ×3, first 2 shown]
	s_mov_b32 s4, 0
	s_brev_b32 s5, 8
	v_mul_f64 v[10:11], v[14:15], v[10:11]
	v_cmp_gt_f64_e32 vcc, s[4:5], v[2:3]
	v_fmac_f64_e32 v[10:11], v[12:13], v[22:23]
	v_cndmask_b32_e64 v12, 0, 1, vcc
	v_lshlrev_b32_e32 v12, 8, v12
	v_ldexp_f64 v[2:3], v[2:3], v12
	v_rsq_f64_e32 v[12:13], v[2:3]
	s_mov_b32 s4, 0x33d43651
	s_mov_b32 s5, 0x3fe98845
	v_mul_f64 v[10:11], v[10:11], s[4:5]
	v_mul_f64 v[14:15], v[2:3], v[12:13]
	v_mul_f64 v[12:13], v[12:13], 0.5
	v_fma_f64 v[16:17], -v[12:13], v[14:15], 0.5
	v_fmac_f64_e32 v[14:15], v[14:15], v[16:17]
	v_fma_f64 v[18:19], -v[14:15], v[14:15], v[2:3]
	v_fmac_f64_e32 v[12:13], v[12:13], v[16:17]
	v_fmac_f64_e32 v[14:15], v[18:19], v[12:13]
	v_fma_f64 v[16:17], -v[14:15], v[14:15], v[2:3]
	v_fmac_f64_e32 v[14:15], v[16:17], v[12:13]
	v_mov_b32_e32 v12, 0xffffff80
	v_cndmask_b32_e32 v12, 0, v12, vcc
	v_ldexp_f64 v[12:13], v[14:15], v12
	v_mov_b32_e32 v14, 0x260
	v_cmp_class_f64_e32 vcc, v[2:3], v14
	v_cndmask_b32_e32 v3, v13, v3, vcc
	v_cndmask_b32_e32 v2, v12, v2, vcc
	v_div_scale_f64 v[12:13], s[4:5], v[2:3], v[2:3], v[10:11]
	v_rcp_f64_e32 v[14:15], v[12:13]
	v_fma_f64 v[16:17], -v[12:13], v[14:15], 1.0
	v_fmac_f64_e32 v[14:15], v[14:15], v[16:17]
	v_fma_f64 v[16:17], -v[12:13], v[14:15], 1.0
	v_fmac_f64_e32 v[14:15], v[14:15], v[16:17]
	v_div_scale_f64 v[16:17], vcc, v[10:11], v[2:3], v[10:11]
	v_mul_f64 v[18:19], v[16:17], v[14:15]
	v_fma_f64 v[12:13], -v[12:13], v[18:19], v[16:17]
	s_nop 1
	v_div_fmas_f64 v[12:13], v[12:13], v[14:15], v[18:19]
	v_div_fixup_f64 v[10:11], v[12:13], v[2:3], v[10:11]
.LBB1_48:
	s_or_b64 exec, exec, s[8:9]
	v_xor_b32_e32 v2, 0x80000000, v5
	v_cmp_gt_f64_e32 vcc, 0, v[4:5]
	s_mov_b32 s4, 0
	v_cndmask_b32_e32 v5, v5, v2, vcc
	s_mov_b32 s5, 0x40140000
	v_cmp_ge_f64_e32 vcc, s[4:5], v[4:5]
	v_mul_f64 v[14:15], v[4:5], v[4:5]
	s_and_saveexec_b64 s[4:5], vcc
	s_xor_b64 s[4:5], exec, s[4:5]
	s_cbranch_execz .LBB1_54
; %bb.49:
	s_mov_b32 s8, 0x88e368f1
	s_mov_b32 s9, 0x3ee4f8b5
	v_cmp_ngt_f64_e32 vcc, s[8:9], v[4:5]
	s_and_saveexec_b64 s[8:9], vcc
	s_xor_b64 s[8:9], exec, s[8:9]
	s_cbranch_execz .LBB1_51
; %bb.50:
	v_mov_b32_e32 v2, 0xad1c8325
	v_mov_b32_e32 v3, 0xc1f1dc53
	v_fmac_f64_e32 v[2:3], 0, v[14:15]
	v_mov_b32_e32 v4, 0xc772990d
	v_mov_b32_e32 v5, 0x427c7751
	v_fmac_f64_e32 v[4:5], v[14:15], v[2:3]
	;; [unrolled: 3-line block ×10, first 2 shown]
	v_mov_b32_e32 v12, 0xc7b662cc
	v_mov_b32_e32 v13, 0x43b7be34
	s_mov_b32 s10, 0x80462bbb
	v_fmac_f64_e32 v[12:13], v[14:15], v[4:5]
	v_mov_b32_e32 v4, 0x69ff5fb4
	v_mov_b32_e32 v5, 0x43413ef8
	s_mov_b32 s11, 0xc01721fb
	v_fmac_f64_e32 v[4:5], v[14:15], v[2:3]
	v_add_f64 v[2:3], v[14:15], s[10:11]
	s_mov_b32 s10, 0xa621dd6f
	s_mov_b32 s11, 0xc03e78a4
	v_add_f64 v[14:15], v[14:15], s[10:11]
	v_mul_f64 v[2:3], v[2:3], v[14:15]
	v_mul_f64 v[2:3], v[2:3], v[4:5]
	v_div_scale_f64 v[4:5], s[10:11], v[12:13], v[12:13], v[2:3]
	v_rcp_f64_e32 v[14:15], v[4:5]
	v_fma_f64 v[16:17], -v[4:5], v[14:15], 1.0
	v_fmac_f64_e32 v[14:15], v[14:15], v[16:17]
	v_fma_f64 v[16:17], -v[4:5], v[14:15], 1.0
	v_fmac_f64_e32 v[14:15], v[14:15], v[16:17]
	v_div_scale_f64 v[16:17], vcc, v[2:3], v[12:13], v[2:3]
	v_mul_f64 v[18:19], v[16:17], v[14:15]
	v_fma_f64 v[4:5], -v[4:5], v[18:19], v[16:17]
	s_nop 1
	v_div_fmas_f64 v[4:5], v[4:5], v[14:15], v[18:19]
	v_div_fixup_f64 v[12:13], v[4:5], v[12:13], v[2:3]
                                        ; implicit-def: $vgpr14_vgpr15
.LBB1_51:
	s_andn2_saveexec_b64 s[8:9], s[8:9]
; %bb.52:
	s_mov_b32 s10, 0
	s_mov_b32 s11, 0xbfd00000
	v_fma_f64 v[12:13], v[14:15], s[10:11], 1.0
; %bb.53:
	s_or_b64 exec, exec, s[8:9]
                                        ; implicit-def: $vgpr14_vgpr15
                                        ; implicit-def: $vgpr4_vgpr5
.LBB1_54:
	s_andn2_saveexec_b64 s[8:9], s[4:5]
	s_cbranch_execz .LBB1_64
; %bb.55:
	s_mov_b32 s13, 0xbfe921fb
	s_mov_b32 s12, 0x54442d18
	s_mov_b32 s4, 0
	v_add_f64 v[2:3], v[4:5], s[12:13]
	s_mov_b32 s5, 0x41d00000
	v_cmp_nlt_f64_e64 s[10:11], |v[2:3]|, s[4:5]
	v_trig_preop_f64 v[26:27], |v[2:3]|, 0
	v_trig_preop_f64 v[24:25], |v[2:3]|, 1
	;; [unrolled: 1-line block ×3, first 2 shown]
                                        ; implicit-def: $vgpr29
                                        ; implicit-def: $vgpr12_vgpr13
                                        ; implicit-def: $vgpr16_vgpr17
	s_and_saveexec_b64 s[4:5], s[10:11]
	s_xor_b64 s[14:15], exec, s[4:5]
	s_cbranch_execz .LBB1_57
; %bb.56:
	s_mov_b32 s4, 0
	s_mov_b32 s5, 0x7b000000
	s_movk_i32 s13, 0xff80
	v_and_b32_e32 v16, 0x7fffffff, v3
	v_ldexp_f64 v[12:13], |v[2:3]|, s13
	v_cmp_ge_f64_e64 vcc, |v[2:3]|, s[4:5]
	v_cndmask_b32_e32 v13, v16, v13, vcc
	v_cndmask_b32_e32 v12, v2, v12, vcc
	v_mul_f64 v[18:19], v[26:27], v[12:13]
	v_mul_f64 v[16:17], v[24:25], v[12:13]
	v_fma_f64 v[20:21], v[26:27], v[12:13], -v[18:19]
	v_add_f64 v[30:31], v[16:17], v[20:21]
	v_add_f64 v[32:33], v[18:19], v[30:31]
	s_mov_b32 s4, 0
	v_ldexp_f64 v[34:35], v[32:33], -2
	s_mov_b32 s5, 0x7ff00000
	v_fract_f64_e32 v[36:37], v[34:35]
	v_cmp_neq_f64_e64 vcc, |v[34:35]|, s[4:5]
	v_cndmask_b32_e32 v35, 0, v37, vcc
	v_cndmask_b32_e32 v34, 0, v36, vcc
	v_add_f64 v[36:37], v[30:31], -v[16:17]
	v_add_f64 v[20:21], v[20:21], -v[36:37]
	;; [unrolled: 1-line block ×4, first 2 shown]
	v_add_f64 v[20:21], v[20:21], v[36:37]
	v_fma_f64 v[16:17], v[24:25], v[12:13], -v[16:17]
	v_mul_f64 v[36:37], v[22:23], v[12:13]
	v_add_f64 v[48:49], v[36:37], v[16:17]
	v_add_f64 v[50:51], v[48:49], v[20:21]
	v_add_f64 v[18:19], v[32:33], -v[18:19]
	v_add_f64 v[32:33], v[50:51], -v[48:49]
	;; [unrolled: 1-line block ×5, first 2 shown]
	v_add_f64 v[20:21], v[20:21], v[32:33]
	v_add_f64 v[32:33], v[48:49], -v[36:37]
	v_add_f64 v[16:17], v[16:17], -v[32:33]
	v_add_f64 v[32:33], v[48:49], -v[32:33]
	v_add_f64 v[18:19], v[30:31], -v[18:19]
	v_add_f64 v[32:33], v[36:37], -v[32:33]
	v_add_f64 v[30:31], v[18:19], v[50:51]
	v_add_f64 v[16:17], v[16:17], v[32:33]
	v_add_f64 v[18:19], v[30:31], -v[18:19]
	v_add_f64 v[16:17], v[16:17], v[20:21]
	v_fma_f64 v[12:13], v[22:23], v[12:13], -v[36:37]
	v_add_f64 v[18:19], v[50:51], -v[18:19]
	v_add_f64 v[12:13], v[12:13], v[16:17]
	v_ldexp_f64 v[16:17], v[34:35], 2
	v_add_f64 v[12:13], v[18:19], v[12:13]
	v_add_f64 v[18:19], v[30:31], v[16:17]
	v_mov_b32_e32 v20, 0x40100000
	v_cmp_gt_f64_e32 vcc, 0, v[18:19]
	v_mov_b32_e32 v38, 0
	v_cndmask_b32_e32 v39, 0, v20, vcc
	v_add_f64 v[16:17], v[16:17], v[38:39]
	v_add_f64 v[18:19], v[30:31], v[16:17]
	v_cvt_i32_f64_e32 v20, v[18:19]
	v_cvt_f64_i32_e32 v[18:19], v20
	v_add_f64 v[16:17], v[16:17], -v[18:19]
	v_add_f64 v[18:19], v[30:31], v[16:17]
	v_add_f64 v[16:17], v[18:19], -v[16:17]
	v_add_f64 v[16:17], v[30:31], -v[16:17]
	v_add_f64 v[12:13], v[12:13], v[16:17]
	v_cmp_le_f64_e32 vcc, 0.5, v[18:19]
	v_mov_b32_e32 v16, 0x3ff00000
	v_cndmask_b32_e32 v39, 0, v16, vcc
	v_add_f64 v[16:17], v[18:19], -v[38:39]
	v_add_f64 v[18:19], v[16:17], v[12:13]
	v_addc_co_u32_e64 v29, s[4:5], 0, v20, vcc
	v_add_f64 v[16:17], v[18:19], -v[16:17]
	s_mov_b32 s13, 0x3ff921fb
	v_add_f64 v[12:13], v[12:13], -v[16:17]
	v_mul_f64 v[16:17], v[18:19], s[12:13]
	s_mov_b32 s4, 0x33145c07
	v_fma_f64 v[20:21], v[18:19], s[12:13], -v[16:17]
	s_mov_b32 s5, 0x3c91a626
	v_fmac_f64_e32 v[20:21], s[4:5], v[18:19]
	v_fmac_f64_e32 v[20:21], s[12:13], v[12:13]
	v_add_f64 v[12:13], v[16:17], v[20:21]
	v_add_f64 v[16:17], v[12:13], -v[16:17]
	v_add_f64 v[16:17], v[20:21], -v[16:17]
	s_andn2_saveexec_b64 s[4:5], s[14:15]
	s_cbranch_execz .LBB1_59
	s_branch .LBB1_58
.LBB1_57:
	s_andn2_saveexec_b64 s[4:5], s[14:15]
	s_cbranch_execz .LBB1_59
.LBB1_58:
	s_mov_b32 s12, 0x6dc9c883
	s_mov_b32 s13, 0x3fe45f30
	v_mul_f64 v[12:13], |v[2:3]|, s[12:13]
	s_mov_b32 s12, 0x54442d18
	v_rndne_f64_e32 v[18:19], v[12:13]
	s_mov_b32 s13, 0xbff921fb
	v_fma_f64 v[12:13], v[18:19], s[12:13], |v[2:3]|
	s_mov_b32 s13, 0xbc91a626
	s_mov_b32 s12, 0x33145c00
	v_mul_f64 v[20:21], v[18:19], s[12:13]
	v_add_f64 v[32:33], v[12:13], v[20:21]
	v_fma_f64 v[16:17], s[12:13], v[18:19], v[12:13]
	s_mov_b32 s13, 0x3c91a626
	v_add_f64 v[12:13], v[12:13], -v[32:33]
	v_fma_f64 v[30:31], s[12:13], v[18:19], v[20:21]
	v_add_f64 v[12:13], v[12:13], v[20:21]
	v_add_f64 v[20:21], v[32:33], -v[16:17]
	v_add_f64 v[12:13], v[20:21], v[12:13]
	s_mov_b32 s12, 0x252049c0
	v_add_f64 v[20:21], v[12:13], -v[30:31]
	s_mov_b32 s13, 0xb97b839a
	v_fmac_f64_e32 v[20:21], s[12:13], v[18:19]
	v_add_f64 v[12:13], v[16:17], v[20:21]
	v_add_f64 v[16:17], v[12:13], -v[16:17]
	v_add_f64 v[16:17], v[20:21], -v[16:17]
	v_cvt_i32_f64_e32 v29, v[18:19]
.LBB1_59:
	s_or_b64 exec, exec, s[4:5]
                                        ; implicit-def: $vgpr30
                                        ; implicit-def: $vgpr18_vgpr19
                                        ; implicit-def: $vgpr20_vgpr21
	s_and_saveexec_b64 s[4:5], s[10:11]
	s_xor_b64 s[10:11], exec, s[4:5]
	s_cbranch_execz .LBB1_61
; %bb.60:
	s_mov_b32 s4, 0
	s_mov_b32 s5, 0x7b000000
	s_movk_i32 s12, 0xff80
	v_and_b32_e32 v20, 0x7fffffff, v3
	v_ldexp_f64 v[18:19], |v[2:3]|, s12
	v_cmp_ge_f64_e64 vcc, |v[2:3]|, s[4:5]
	v_cndmask_b32_e32 v19, v20, v19, vcc
	v_cndmask_b32_e32 v18, v2, v18, vcc
	v_mul_f64 v[30:31], v[26:27], v[18:19]
	v_mul_f64 v[20:21], v[24:25], v[18:19]
	v_fma_f64 v[26:27], v[26:27], v[18:19], -v[30:31]
	v_add_f64 v[32:33], v[20:21], v[26:27]
	v_add_f64 v[34:35], v[30:31], v[32:33]
	s_mov_b32 s4, 0
	v_ldexp_f64 v[36:37], v[34:35], -2
	s_mov_b32 s5, 0x7ff00000
	v_fract_f64_e32 v[38:39], v[36:37]
	v_cmp_neq_f64_e64 vcc, |v[36:37]|, s[4:5]
	v_cndmask_b32_e32 v37, 0, v39, vcc
	v_cndmask_b32_e32 v36, 0, v38, vcc
	v_add_f64 v[38:39], v[32:33], -v[20:21]
	v_add_f64 v[26:27], v[26:27], -v[38:39]
	;; [unrolled: 1-line block ×4, first 2 shown]
	v_fma_f64 v[20:21], v[24:25], v[18:19], -v[20:21]
	v_mul_f64 v[24:25], v[22:23], v[18:19]
	v_add_f64 v[26:27], v[26:27], v[38:39]
	v_add_f64 v[38:39], v[24:25], v[20:21]
	;; [unrolled: 1-line block ×3, first 2 shown]
	v_add_f64 v[30:31], v[34:35], -v[30:31]
	v_add_f64 v[34:35], v[50:51], -v[38:39]
	;; [unrolled: 1-line block ×5, first 2 shown]
	v_add_f64 v[26:27], v[26:27], v[34:35]
	v_add_f64 v[34:35], v[38:39], -v[24:25]
	v_add_f64 v[20:21], v[20:21], -v[34:35]
	;; [unrolled: 1-line block ×4, first 2 shown]
	v_add_f64 v[20:21], v[20:21], v[34:35]
	v_add_f64 v[30:31], v[32:33], -v[30:31]
	v_add_f64 v[20:21], v[20:21], v[26:27]
	v_fma_f64 v[18:19], v[22:23], v[18:19], -v[24:25]
	v_add_f64 v[32:33], v[30:31], v[50:51]
	v_add_f64 v[18:19], v[18:19], v[20:21]
	v_ldexp_f64 v[20:21], v[36:37], 2
	v_add_f64 v[22:23], v[32:33], v[20:21]
	v_mov_b32_e32 v24, 0x40100000
	v_cmp_gt_f64_e32 vcc, 0, v[22:23]
	v_mov_b32_e32 v48, 0
	v_cndmask_b32_e32 v49, 0, v24, vcc
	v_add_f64 v[20:21], v[20:21], v[48:49]
	v_add_f64 v[22:23], v[32:33], v[20:21]
	v_cvt_i32_f64_e32 v24, v[22:23]
	v_cvt_f64_i32_e32 v[22:23], v24
	v_add_f64 v[20:21], v[20:21], -v[22:23]
	v_add_f64 v[30:31], v[32:33], -v[30:31]
	v_add_f64 v[22:23], v[32:33], v[20:21]
	v_add_f64 v[30:31], v[50:51], -v[30:31]
	v_add_f64 v[20:21], v[22:23], -v[20:21]
	v_add_f64 v[18:19], v[30:31], v[18:19]
	v_add_f64 v[20:21], v[32:33], -v[20:21]
	v_add_f64 v[18:19], v[18:19], v[20:21]
	v_cmp_le_f64_e32 vcc, 0.5, v[22:23]
	v_mov_b32_e32 v20, 0x3ff00000
	v_cndmask_b32_e32 v49, 0, v20, vcc
	v_addc_co_u32_e64 v30, s[4:5], 0, v24, vcc
	v_add_f64 v[20:21], v[22:23], -v[48:49]
	v_add_f64 v[22:23], v[20:21], v[18:19]
	s_mov_b32 s4, 0x54442d18
	v_add_f64 v[20:21], v[22:23], -v[20:21]
	s_mov_b32 s5, 0x3ff921fb
	v_add_f64 v[18:19], v[18:19], -v[20:21]
	v_mul_f64 v[20:21], v[22:23], s[4:5]
	s_mov_b32 s12, 0x33145c07
	v_fma_f64 v[24:25], v[22:23], s[4:5], -v[20:21]
	s_mov_b32 s13, 0x3c91a626
	v_fmac_f64_e32 v[24:25], s[12:13], v[22:23]
	v_fmac_f64_e32 v[24:25], s[4:5], v[18:19]
	v_add_f64 v[18:19], v[20:21], v[24:25]
	v_add_f64 v[20:21], v[18:19], -v[20:21]
	v_add_f64 v[20:21], v[24:25], -v[20:21]
	s_andn2_saveexec_b64 s[4:5], s[10:11]
	s_cbranch_execnz .LBB1_62
	s_branch .LBB1_63
.LBB1_61:
	s_andn2_saveexec_b64 s[4:5], s[10:11]
	s_cbranch_execz .LBB1_63
.LBB1_62:
	s_mov_b32 s10, 0x6dc9c883
	s_mov_b32 s11, 0x3fe45f30
	v_mul_f64 v[18:19], |v[2:3]|, s[10:11]
	s_mov_b32 s10, 0x54442d18
	v_rndne_f64_e32 v[22:23], v[18:19]
	s_mov_b32 s11, 0xbff921fb
	v_fma_f64 v[18:19], v[22:23], s[10:11], |v[2:3]|
	s_mov_b32 s11, 0xbc91a626
	s_mov_b32 s10, 0x33145c00
	v_mul_f64 v[24:25], v[22:23], s[10:11]
	v_add_f64 v[30:31], v[18:19], v[24:25]
	v_fma_f64 v[20:21], s[10:11], v[22:23], v[18:19]
	s_mov_b32 s11, 0x3c91a626
	v_add_f64 v[18:19], v[18:19], -v[30:31]
	v_fma_f64 v[26:27], s[10:11], v[22:23], v[24:25]
	v_add_f64 v[18:19], v[18:19], v[24:25]
	v_add_f64 v[24:25], v[30:31], -v[20:21]
	v_add_f64 v[18:19], v[24:25], v[18:19]
	s_mov_b32 s10, 0x252049c0
	v_add_f64 v[24:25], v[18:19], -v[26:27]
	s_mov_b32 s11, 0xb97b839a
	v_fmac_f64_e32 v[24:25], s[10:11], v[22:23]
	v_add_f64 v[18:19], v[20:21], v[24:25]
	v_add_f64 v[20:21], v[18:19], -v[20:21]
	v_add_f64 v[20:21], v[24:25], -v[20:21]
	v_cvt_i32_f64_e32 v30, v[22:23]
.LBB1_63:
	s_or_b64 exec, exec, s[4:5]
	s_mov_b32 s4, 0
	s_mov_b32 s5, 0x40390000
	v_div_scale_f64 v[22:23], s[10:11], v[14:15], v[14:15], s[4:5]
	v_rcp_f64_e32 v[24:25], v[22:23]
	v_mov_b32_e32 v34, 0xb1759c7f
	v_mov_b32_e32 v35, 0x408ac370
	;; [unrolled: 1-line block ×3, first 2 shown]
	v_fma_f64 v[26:27], -v[22:23], v[24:25], 1.0
	v_fmac_f64_e32 v[24:25], v[24:25], v[26:27]
	v_fma_f64 v[26:27], -v[22:23], v[24:25], 1.0
	v_fmac_f64_e32 v[24:25], v[24:25], v[26:27]
	v_div_scale_f64 v[26:27], vcc, s[4:5], v[14:15], s[4:5]
	v_mul_f64 v[32:33], v[26:27], v[24:25]
	v_fma_f64 v[22:23], -v[22:23], v[32:33], v[26:27]
	v_mov_b32_e32 v26, 0xab5454e3
	s_nop 0
	v_div_fmas_f64 v[22:23], v[22:23], v[24:25], v[32:33]
	v_div_fixup_f64 v[14:15], v[22:23], v[14:15], s[4:5]
	v_mov_b32_e32 v22, 0x983b6b27
	v_mov_b32_e32 v23, 0x3f4a1d30
	v_fmac_f64_e32 v[22:23], 0, v[14:15]
	v_mov_b32_e32 v24, 0xb35dd1cf
	v_mov_b32_e32 v25, 0x3fb534b0
	v_fmac_f64_e32 v[24:25], v[14:15], v[22:23]
	;; [unrolled: 3-line block ×7, first 2 shown]
	v_mov_b32_e32 v27, 0x3fb5ebc5
	v_fmac_f64_e32 v[26:27], v[14:15], v[22:23]
	v_mov_b32_e32 v22, 0xc9b3069f
	v_mov_b32_e32 v23, 0x3ff40e72
	v_fmac_f64_e32 v[22:23], v[14:15], v[26:27]
	v_mov_b32_e32 v26, 0xe68162bb
	;; [unrolled: 3-line block ×4, first 2 shown]
	v_mov_b32_e32 v27, 0x40153965
	v_fmac_f64_e32 v[26:27], v[14:15], v[22:23]
	v_fma_f64 v[22:23], v[14:15], v[26:27], 1.0
	v_mov_b32_e32 v26, 0x38a5384a
	v_mov_b32_e32 v27, 0xbf874742
	v_fmac_f64_e32 v[26:27], 0, v[14:15]
	v_mov_b32_e32 v32, 0x3a321174
	v_mov_b32_e32 v33, 0xbff4853b
	v_fmac_f64_e32 v[32:33], v[14:15], v[26:27]
	v_mov_b32_e32 v26, 0xf50e2c0c
	v_mov_b32_e32 v27, 0xc0338dcf
	v_fmac_f64_e32 v[26:27], v[14:15], v[32:33]
	v_mov_b32_e32 v32, 0x5a6de8c4
	v_mov_b32_e32 v33, 0xc0574d2f
	v_fmac_f64_e32 v[32:33], v[14:15], v[26:27]
	v_mov_b32_e32 v26, 0x20cae8ea
	v_mov_b32_e32 v27, 0xc06635cc
	v_fmac_f64_e32 v[26:27], v[14:15], v[32:33]
	v_mov_b32_e32 v32, 0xec17392d
	v_mov_b32_e32 v33, 0xc062627a
	v_fmac_f64_e32 v[32:33], v[14:15], v[26:27]
	v_mov_b32_e32 v26, 0x55b218cd
	v_mov_b32_e32 v27, 0xc049b48c
	v_fmac_f64_e32 v[26:27], v[14:15], v[32:33]
	v_mov_b32_e32 v32, 0xd1b9a1dd
	v_mov_b32_e32 v33, 0xc0183358
	v_fmac_f64_e32 v[32:33], v[14:15], v[26:27]
	v_mov_b32_e32 v26, 0x413c25ac
	v_mov_b32_e32 v27, 0x40501457
	v_fmac_f64_e32 v[26:27], 0, v[14:15]
	v_fmac_f64_e32 v[34:35], v[14:15], v[26:27]
	v_mov_b32_e32 v26, 0xbd748cb5
	v_mov_b32_e32 v27, 0x40ae54cd
	v_fmac_f64_e32 v[26:27], v[14:15], v[34:35]
	v_mov_b32_e32 v34, 0xbdefd63e
	v_mov_b32_e32 v35, 0x40bc4877
	v_fmac_f64_e32 v[34:35], v[14:15], v[26:27]
	v_mov_b32_e32 v26, 0x1d733b11
	v_mov_b32_e32 v27, 0x40b72aba
	v_fmac_f64_e32 v[26:27], v[14:15], v[34:35]
	v_mov_b32_e32 v34, 0xc7319e82
	v_mov_b32_e32 v35, 0x40a01c2f
	v_fma_f64 v[24:25], v[14:15], v[24:25], 1.0
	v_fmac_f64_e32 v[34:35], v[14:15], v[26:27]
	v_div_scale_f64 v[26:27], s[4:5], v[22:23], v[22:23], v[24:25]
	v_rcp_f64_e32 v[36:37], v[26:27]
	v_mov_b32_e32 v39, 0x406e402f
	v_fmac_f64_e32 v[38:39], v[14:15], v[34:35]
	s_mov_b32 s4, 0x9037ab78
	v_fma_f64 v[14:15], -v[26:27], v[36:37], 1.0
	v_fmac_f64_e32 v[36:37], v[36:37], v[14:15]
	v_fma_f64 v[14:15], -v[26:27], v[36:37], 1.0
	v_fmac_f64_e32 v[36:37], v[36:37], v[14:15]
	v_div_scale_f64 v[14:15], vcc, v[24:25], v[22:23], v[24:25]
	v_mul_f64 v[34:35], v[14:15], v[36:37]
	v_fma_f64 v[14:15], -v[26:27], v[34:35], v[14:15]
	s_mov_b32 s5, 0x3e21eeb6
	s_nop 0
	v_div_fmas_f64 v[14:15], v[14:15], v[36:37], v[34:35]
	s_mov_b32 s10, 0x46cc5e42
	v_div_fixup_f64 v[14:15], v[14:15], v[22:23], v[24:25]
	v_mul_f64 v[22:23], v[12:13], v[12:13]
	s_mov_b32 s11, 0xbda907db
	v_pk_mov_b32 v[36:37], s[4:5], s[4:5] op_sel:[0,1]
	s_mov_b32 s12, 0xa17f65f6
	v_mul_f64 v[24:25], v[22:23], 0.5
	v_fma_f64 v[48:49], s[10:11], v[22:23], v[36:37]
	s_mov_b32 s13, 0xbe927e4f
	s_mov_b32 s14, 0x19f4ec90
	v_add_f64 v[26:27], -v[24:25], 1.0
	v_fma_f64 v[48:49], v[22:23], v[48:49], s[12:13]
	s_mov_b32 s15, 0x3efa01a0
	s_mov_b32 s16, 0x16c16967
	v_add_f64 v[34:35], -v[26:27], 1.0
	v_fma_f64 v[48:49], v[22:23], v[48:49], s[14:15]
	s_mov_b32 s17, 0xbf56c16c
	s_mov_b32 s18, 0x55555555
	v_add_f64 v[24:25], v[34:35], -v[24:25]
	v_fma_f64 v[48:49], v[22:23], v[48:49], s[16:17]
	s_mov_b32 s19, 0x3fa55555
	v_mul_f64 v[34:35], v[22:23], v[22:23]
	v_fma_f64 v[48:49], v[22:23], v[48:49], s[18:19]
	v_fma_f64 v[24:25], v[12:13], -v[16:17], v[24:25]
	s_mov_b32 s4, 0xb42fdfa7
	v_fmac_f64_e32 v[24:25], v[34:35], v[48:49]
	s_mov_b32 s5, 0xbe5ae600
	s_mov_b32 s20, 0xf9a43bb8
	v_add_f64 v[24:25], v[26:27], v[24:25]
	s_mov_b32 s21, 0x3de5e0b2
	v_pk_mov_b32 v[26:27], s[4:5], s[4:5] op_sel:[0,1]
	s_mov_b32 s22, 0x796cde01
	v_fma_f64 v[34:35], s[20:21], v[22:23], v[26:27]
	s_mov_b32 s23, 0x3ec71de3
	s_mov_b32 s24, 0x19e83e5c
	v_fma_f64 v[34:35], v[22:23], v[34:35], s[22:23]
	s_mov_b32 s25, 0xbf2a01a0
	;; [unrolled: 3-line block ×3, first 2 shown]
	v_fma_f64 v[34:35], v[22:23], v[34:35], s[26:27]
	v_mul_f64 v[48:49], v[12:13], -v[22:23]
	v_mul_f64 v[50:51], v[16:17], 0.5
	v_fmac_f64_e32 v[50:51], v[48:49], v[34:35]
	v_fma_f64 v[16:17], v[22:23], v[50:51], -v[16:17]
	s_mov_b32 s29, 0xbfc55555
	s_mov_b32 s28, s18
	v_fmac_f64_e32 v[16:17], s[28:29], v[48:49]
	v_add_f64 v[12:13], v[12:13], -v[16:17]
	v_and_b32_e32 v16, 1, v29
	v_xor_b32_e32 v13, 0x80000000, v13
	v_cmp_eq_u32_e32 vcc, 0, v16
	v_cndmask_b32_e32 v22, v12, v24, vcc
	v_cndmask_b32_e32 v12, v13, v25, vcc
	v_lshlrev_b32_e32 v13, 30, v29
	s_mov_b32 s30, 0
	v_and_b32_e32 v13, 0x80000000, v13
	s_mov_b32 s31, 0xc0140000
	v_xor_b32_e32 v23, v12, v13
	v_div_scale_f64 v[12:13], s[4:5], v[4:5], v[4:5], s[30:31]
	v_rcp_f64_e32 v[16:17], v[12:13]
	s_movk_i32 vcc_lo, 0x1f8
	v_cmp_class_f64_e64 s[4:5], v[2:3], vcc_lo
	v_and_b32_e32 v2, 1, v30
	v_fma_f64 v[24:25], -v[12:13], v[16:17], 1.0
	v_fmac_f64_e32 v[16:17], v[16:17], v[24:25]
	v_fma_f64 v[24:25], -v[12:13], v[16:17], 1.0
	v_fmac_f64_e32 v[16:17], v[16:17], v[24:25]
	v_div_scale_f64 v[24:25], vcc, s[30:31], v[4:5], s[30:31]
	v_mul_f64 v[34:35], v[24:25], v[16:17]
	v_fma_f64 v[12:13], -v[12:13], v[34:35], v[24:25]
	v_div_scale_f64 v[24:25], s[34:35], v[38:39], v[38:39], v[32:33]
	v_rcp_f64_e32 v[48:49], v[24:25]
	v_div_fmas_f64 v[12:13], v[12:13], v[16:17], v[34:35]
	v_div_fixup_f64 v[12:13], v[12:13], v[4:5], s[30:31]
	v_mov_b32_e32 v29, 0x7ff80000
	v_fma_f64 v[16:17], -v[24:25], v[48:49], 1.0
	v_fmac_f64_e32 v[48:49], v[48:49], v[16:17]
	v_fma_f64 v[16:17], -v[24:25], v[48:49], 1.0
	v_fmac_f64_e32 v[48:49], v[48:49], v[16:17]
	v_div_scale_f64 v[16:17], vcc, v[32:33], v[38:39], v[32:33]
	v_mul_f64 v[34:35], v[16:17], v[48:49]
	v_fma_f64 v[16:17], -v[24:25], v[34:35], v[16:17]
	v_cndmask_b32_e64 v22, 0, v22, s[4:5]
	s_nop 0
	v_div_fmas_f64 v[16:17], v[16:17], v[48:49], v[34:35]
	v_div_fixup_f64 v[16:17], v[16:17], v[38:39], v[32:33]
	v_mul_f64 v[12:13], v[12:13], v[16:17]
	v_mul_f64 v[16:17], v[18:19], v[18:19]
	v_mul_f64 v[24:25], v[16:17], 0.5
	v_fmac_f64_e32 v[36:37], s[10:11], v[16:17]
	v_add_f64 v[32:33], -v[24:25], 1.0
	v_fma_f64 v[36:37], v[16:17], v[36:37], s[12:13]
	v_add_f64 v[34:35], -v[32:33], 1.0
	v_fma_f64 v[36:37], v[16:17], v[36:37], s[14:15]
	v_add_f64 v[24:25], v[34:35], -v[24:25]
	v_fma_f64 v[36:37], v[16:17], v[36:37], s[16:17]
	v_fmac_f64_e32 v[26:27], s[20:21], v[16:17]
	v_mul_f64 v[34:35], v[16:17], v[16:17]
	v_fma_f64 v[36:37], v[16:17], v[36:37], s[18:19]
	v_fma_f64 v[24:25], v[18:19], -v[20:21], v[24:25]
	v_fma_f64 v[26:27], v[16:17], v[26:27], s[22:23]
	v_fmac_f64_e32 v[24:25], v[34:35], v[36:37]
	v_fma_f64 v[26:27], v[16:17], v[26:27], s[24:25]
	v_add_f64 v[24:25], v[32:33], v[24:25]
	v_fma_f64 v[26:27], v[16:17], v[26:27], s[26:27]
	v_mul_f64 v[32:33], v[18:19], -v[16:17]
	v_mul_f64 v[34:35], v[20:21], 0.5
	v_fmac_f64_e32 v[34:35], v[32:33], v[26:27]
	v_fma_f64 v[16:17], v[16:17], v[34:35], -v[20:21]
	v_fmac_f64_e32 v[16:17], s[28:29], v[32:33]
	v_add_f64 v[16:17], v[18:19], -v[16:17]
	v_cmp_eq_u32_e32 vcc, 0, v2
	v_cndmask_b32_e32 v2, v24, v16, vcc
	v_cndmask_b32_e32 v16, v25, v17, vcc
	v_lshlrev_b32_e32 v17, 30, v30
	v_xor_b32_e32 v3, v17, v3
	v_and_b32_e32 v3, 0x80000000, v3
	v_xor_b32_e32 v3, v16, v3
	v_cndmask_b32_e64 v23, v29, v23, s[4:5]
	v_cndmask_b32_e64 v2, 0, v2, s[4:5]
	;; [unrolled: 1-line block ×3, first 2 shown]
	s_mov_b32 s4, 0
	s_brev_b32 s5, 8
	v_cmp_gt_f64_e32 vcc, s[4:5], v[4:5]
	v_mul_f64 v[2:3], v[12:13], v[2:3]
	v_cndmask_b32_e64 v12, 0, 1, vcc
	v_lshlrev_b32_e32 v12, 8, v12
	v_ldexp_f64 v[4:5], v[4:5], v12
	v_rsq_f64_e32 v[12:13], v[4:5]
	v_fmac_f64_e32 v[2:3], v[14:15], v[22:23]
	s_mov_b32 s4, 0x33d43651
	s_mov_b32 s5, 0x3fe98845
	v_mul_f64 v[14:15], v[4:5], v[12:13]
	v_mul_f64 v[12:13], v[12:13], 0.5
	v_fma_f64 v[16:17], -v[12:13], v[14:15], 0.5
	v_fmac_f64_e32 v[14:15], v[14:15], v[16:17]
	v_fma_f64 v[18:19], -v[14:15], v[14:15], v[4:5]
	v_fmac_f64_e32 v[12:13], v[12:13], v[16:17]
	v_fmac_f64_e32 v[14:15], v[18:19], v[12:13]
	v_fma_f64 v[16:17], -v[14:15], v[14:15], v[4:5]
	v_fmac_f64_e32 v[14:15], v[16:17], v[12:13]
	v_mov_b32_e32 v12, 0xffffff80
	v_cndmask_b32_e32 v12, 0, v12, vcc
	v_ldexp_f64 v[12:13], v[14:15], v12
	v_mov_b32_e32 v14, 0x260
	v_cmp_class_f64_e32 vcc, v[4:5], v14
	v_mul_f64 v[2:3], v[2:3], s[4:5]
	v_cndmask_b32_e32 v5, v13, v5, vcc
	v_cndmask_b32_e32 v4, v12, v4, vcc
	v_div_scale_f64 v[12:13], s[4:5], v[4:5], v[4:5], v[2:3]
	v_rcp_f64_e32 v[14:15], v[12:13]
	v_fma_f64 v[16:17], -v[12:13], v[14:15], 1.0
	v_fmac_f64_e32 v[14:15], v[14:15], v[16:17]
	v_fma_f64 v[16:17], -v[12:13], v[14:15], 1.0
	v_fmac_f64_e32 v[14:15], v[14:15], v[16:17]
	v_div_scale_f64 v[16:17], vcc, v[2:3], v[4:5], v[2:3]
	v_mul_f64 v[18:19], v[16:17], v[14:15]
	v_fma_f64 v[12:13], -v[12:13], v[18:19], v[16:17]
	s_nop 1
	v_div_fmas_f64 v[12:13], v[12:13], v[14:15], v[18:19]
	v_div_fixup_f64 v[12:13], v[12:13], v[4:5], v[2:3]
.LBB1_64:
	s_or_b64 exec, exec, s[8:9]
	v_mov_b32_e32 v2, s7
	v_add_co_u32_e32 v0, vcc, s6, v0
	v_addc_co_u32_e32 v1, vcc, v1, v2, vcc
	v_add_co_u32_e32 v0, vcc, v0, v28
	v_addc_co_u32_e32 v1, vcc, 0, v1, vcc
	v_readlane_b32 s30, v40, 2
	flat_store_dwordx4 v[0:1], v[6:9]
	flat_store_dwordx4 v[0:1], v[10:13] offset:16
	v_readlane_b32 s31, v40, 3
	v_readlane_b32 s35, v40, 1
	;; [unrolled: 1-line block ×3, first 2 shown]
	s_or_saveexec_b64 s[4:5], -1
	buffer_load_dword v40, off, s[0:3], s32 ; 4-byte Folded Reload
	s_mov_b64 exec, s[4:5]
	s_waitcnt vmcnt(0) lgkmcnt(0)
	s_setpc_b64 s[30:31]
.Lfunc_end1:
	.size	_ZN2at6native25elementwise_kernel_helperILb0EZZZNS0_12_GLOBAL__N_121bessel_j0_kernel_cudaERNS_18TensorIteratorBaseEENKUlvE_clEvENKUlvE_clEvEUldE_NS0_6memory8policies10vectorizedILi4ESt5arrayIPcLm2EELi4EEEEEvT0_T1_, .Lfunc_end1-_ZN2at6native25elementwise_kernel_helperILb0EZZZNS0_12_GLOBAL__N_121bessel_j0_kernel_cudaERNS_18TensorIteratorBaseEENKUlvE_clEvENKUlvE_clEvEUldE_NS0_6memory8policies10vectorizedILi4ESt5arrayIPcLm2EELi4EEEEEvT0_T1_
                                        ; -- End function
	.section	.AMDGPU.csdata,"",@progbits
; Function info:
; codeLenInByte = 16384
; NumSgprs: 40
; NumVgprs: 52
; NumAgprs: 0
; TotalNumVgprs: 52
; ScratchSize: 8
; MemoryBound: 0
	.section	.text._ZN2at6native29vectorized_elementwise_kernelILi16EZZZNS0_12_GLOBAL__N_121bessel_j0_kernel_cudaERNS_18TensorIteratorBaseEENKUlvE_clEvENKUlvE_clEvEUldE_St5arrayIPcLm2EEEEviT0_T1_,"axG",@progbits,_ZN2at6native29vectorized_elementwise_kernelILi16EZZZNS0_12_GLOBAL__N_121bessel_j0_kernel_cudaERNS_18TensorIteratorBaseEENKUlvE_clEvENKUlvE_clEvEUldE_St5arrayIPcLm2EEEEviT0_T1_,comdat
	.globl	_ZN2at6native29vectorized_elementwise_kernelILi16EZZZNS0_12_GLOBAL__N_121bessel_j0_kernel_cudaERNS_18TensorIteratorBaseEENKUlvE_clEvENKUlvE_clEvEUldE_St5arrayIPcLm2EEEEviT0_T1_ ; -- Begin function _ZN2at6native29vectorized_elementwise_kernelILi16EZZZNS0_12_GLOBAL__N_121bessel_j0_kernel_cudaERNS_18TensorIteratorBaseEENKUlvE_clEvENKUlvE_clEvEUldE_St5arrayIPcLm2EEEEviT0_T1_
	.p2align	8
	.type	_ZN2at6native29vectorized_elementwise_kernelILi16EZZZNS0_12_GLOBAL__N_121bessel_j0_kernel_cudaERNS_18TensorIteratorBaseEENKUlvE_clEvENKUlvE_clEvEUldE_St5arrayIPcLm2EEEEviT0_T1_,@function
_ZN2at6native29vectorized_elementwise_kernelILi16EZZZNS0_12_GLOBAL__N_121bessel_j0_kernel_cudaERNS_18TensorIteratorBaseEENKUlvE_clEvENKUlvE_clEvEUldE_St5arrayIPcLm2EEEEviT0_T1_: ; @_ZN2at6native29vectorized_elementwise_kernelILi16EZZZNS0_12_GLOBAL__N_121bessel_j0_kernel_cudaERNS_18TensorIteratorBaseEENKUlvE_clEvENKUlvE_clEvEUldE_St5arrayIPcLm2EEEEviT0_T1_
; %bb.0:
	s_add_u32 flat_scratch_lo, s6, s9
	s_load_dword s6, s[4:5], 0x0
	s_load_dwordx4 s[36:39], s[4:5], 0x8
	s_addc_u32 flat_scratch_hi, s7, 0
	s_add_u32 s0, s0, s9
	s_addc_u32 s1, s1, 0
	s_lshl_b32 s4, s8, 10
	s_waitcnt lgkmcnt(0)
	s_sub_i32 s40, s6, s4
	s_mov_b32 s33, s8
	v_mov_b32_e32 v41, v0
	s_cmpk_gt_i32 s40, 0x3ff
	s_mov_b64 s[4:5], -1
	s_mov_b32 s32, 0
	s_cbranch_scc1 .LBB2_3
; %bb.1:
	s_andn2_b64 vcc, exec, s[4:5]
	s_cbranch_vccz .LBB2_4
.LBB2_2:
	s_endpgm
.LBB2_3:
	s_mov_b32 s12, s33
	v_mov_b32_e32 v31, v41
	v_mov_b32_e32 v0, s36
	;; [unrolled: 1-line block ×5, first 2 shown]
	s_getpc_b64 s[4:5]
	s_add_u32 s4, s4, _ZN2at6native25elementwise_kernel_helperILb0EZZZNS0_12_GLOBAL__N_121bessel_j0_kernel_cudaERNS_18TensorIteratorBaseEENKUlvE_clEvENKUlvE_clEvEUldE_NS0_6memory8policies10vectorizedILi4ESt5arrayIPcLm2EELi4EEEEEvT0_T1_@rel32@lo+4
	s_addc_u32 s5, s5, _ZN2at6native25elementwise_kernel_helperILb0EZZZNS0_12_GLOBAL__N_121bessel_j0_kernel_cudaERNS_18TensorIteratorBaseEENKUlvE_clEvENKUlvE_clEvEUldE_NS0_6memory8policies10vectorizedILi4ESt5arrayIPcLm2EELi4EEEEEvT0_T1_@rel32@hi+12
	s_swappc_b64 s[30:31], s[4:5]
	s_cbranch_execnz .LBB2_2
.LBB2_4:
	s_mov_b32 s12, s33
	v_mov_b32_e32 v31, v41
	v_mov_b32_e32 v0, s36
	;; [unrolled: 1-line block ×6, first 2 shown]
	s_getpc_b64 s[4:5]
	s_add_u32 s4, s4, _ZN2at6native25elementwise_kernel_helperILb0EZZZNS0_12_GLOBAL__N_121bessel_j0_kernel_cudaERNS_18TensorIteratorBaseEENKUlvE_clEvENKUlvE_clEvEUldE_NS0_6memory8policies11unroll_baseILi256ESt5arrayIPcLm2EE23TrivialOffsetCalculatorILi1EjESF_NS8_15LoadWithoutCastENS8_16StoreWithoutCastELi4ELi1EEEEEvT0_T1_@rel32@lo+4
	s_addc_u32 s5, s5, _ZN2at6native25elementwise_kernel_helperILb0EZZZNS0_12_GLOBAL__N_121bessel_j0_kernel_cudaERNS_18TensorIteratorBaseEENKUlvE_clEvENKUlvE_clEvEUldE_NS0_6memory8policies11unroll_baseILi256ESt5arrayIPcLm2EE23TrivialOffsetCalculatorILi1EjESF_NS8_15LoadWithoutCastENS8_16StoreWithoutCastELi4ELi1EEEEEvT0_T1_@rel32@hi+12
	s_swappc_b64 s[30:31], s[4:5]
	s_endpgm
	.section	.rodata,"a",@progbits
	.p2align	6, 0x0
	.amdhsa_kernel _ZN2at6native29vectorized_elementwise_kernelILi16EZZZNS0_12_GLOBAL__N_121bessel_j0_kernel_cudaERNS_18TensorIteratorBaseEENKUlvE_clEvENKUlvE_clEvEUldE_St5arrayIPcLm2EEEEviT0_T1_
		.amdhsa_group_segment_fixed_size 0
		.amdhsa_private_segment_fixed_size 8
		.amdhsa_kernarg_size 24
		.amdhsa_user_sgpr_count 8
		.amdhsa_user_sgpr_private_segment_buffer 1
		.amdhsa_user_sgpr_dispatch_ptr 0
		.amdhsa_user_sgpr_queue_ptr 0
		.amdhsa_user_sgpr_kernarg_segment_ptr 1
		.amdhsa_user_sgpr_dispatch_id 0
		.amdhsa_user_sgpr_flat_scratch_init 1
		.amdhsa_user_sgpr_kernarg_preload_length 0
		.amdhsa_user_sgpr_kernarg_preload_offset 0
		.amdhsa_user_sgpr_private_segment_size 0
		.amdhsa_uses_dynamic_stack 0
		.amdhsa_system_sgpr_private_segment_wavefront_offset 1
		.amdhsa_system_sgpr_workgroup_id_x 1
		.amdhsa_system_sgpr_workgroup_id_y 0
		.amdhsa_system_sgpr_workgroup_id_z 0
		.amdhsa_system_sgpr_workgroup_info 0
		.amdhsa_system_vgpr_workitem_id 0
		.amdhsa_next_free_vgpr 68
		.amdhsa_next_free_sgpr 41
		.amdhsa_accum_offset 68
		.amdhsa_reserve_vcc 1
		.amdhsa_reserve_flat_scratch 1
		.amdhsa_float_round_mode_32 0
		.amdhsa_float_round_mode_16_64 0
		.amdhsa_float_denorm_mode_32 3
		.amdhsa_float_denorm_mode_16_64 3
		.amdhsa_dx10_clamp 1
		.amdhsa_ieee_mode 1
		.amdhsa_fp16_overflow 0
		.amdhsa_tg_split 0
		.amdhsa_exception_fp_ieee_invalid_op 0
		.amdhsa_exception_fp_denorm_src 0
		.amdhsa_exception_fp_ieee_div_zero 0
		.amdhsa_exception_fp_ieee_overflow 0
		.amdhsa_exception_fp_ieee_underflow 0
		.amdhsa_exception_fp_ieee_inexact 0
		.amdhsa_exception_int_div_zero 0
	.end_amdhsa_kernel
	.section	.text._ZN2at6native29vectorized_elementwise_kernelILi16EZZZNS0_12_GLOBAL__N_121bessel_j0_kernel_cudaERNS_18TensorIteratorBaseEENKUlvE_clEvENKUlvE_clEvEUldE_St5arrayIPcLm2EEEEviT0_T1_,"axG",@progbits,_ZN2at6native29vectorized_elementwise_kernelILi16EZZZNS0_12_GLOBAL__N_121bessel_j0_kernel_cudaERNS_18TensorIteratorBaseEENKUlvE_clEvENKUlvE_clEvEUldE_St5arrayIPcLm2EEEEviT0_T1_,comdat
.Lfunc_end2:
	.size	_ZN2at6native29vectorized_elementwise_kernelILi16EZZZNS0_12_GLOBAL__N_121bessel_j0_kernel_cudaERNS_18TensorIteratorBaseEENKUlvE_clEvENKUlvE_clEvEUldE_St5arrayIPcLm2EEEEviT0_T1_, .Lfunc_end2-_ZN2at6native29vectorized_elementwise_kernelILi16EZZZNS0_12_GLOBAL__N_121bessel_j0_kernel_cudaERNS_18TensorIteratorBaseEENKUlvE_clEvENKUlvE_clEvEUldE_St5arrayIPcLm2EEEEviT0_T1_
                                        ; -- End function
	.section	.AMDGPU.csdata,"",@progbits
; Kernel info:
; codeLenInByte = 188
; NumSgprs: 47
; NumVgprs: 68
; NumAgprs: 0
; TotalNumVgprs: 68
; ScratchSize: 8
; MemoryBound: 0
; FloatMode: 240
; IeeeMode: 1
; LDSByteSize: 0 bytes/workgroup (compile time only)
; SGPRBlocks: 5
; VGPRBlocks: 8
; NumSGPRsForWavesPerEU: 47
; NumVGPRsForWavesPerEU: 68
; AccumOffset: 68
; Occupancy: 7
; WaveLimiterHint : 0
; COMPUTE_PGM_RSRC2:SCRATCH_EN: 1
; COMPUTE_PGM_RSRC2:USER_SGPR: 8
; COMPUTE_PGM_RSRC2:TRAP_HANDLER: 0
; COMPUTE_PGM_RSRC2:TGID_X_EN: 1
; COMPUTE_PGM_RSRC2:TGID_Y_EN: 0
; COMPUTE_PGM_RSRC2:TGID_Z_EN: 0
; COMPUTE_PGM_RSRC2:TIDIG_COMP_CNT: 0
; COMPUTE_PGM_RSRC3_GFX90A:ACCUM_OFFSET: 16
; COMPUTE_PGM_RSRC3_GFX90A:TG_SPLIT: 0
	.section	.text._ZN2at6native29vectorized_elementwise_kernelILi8EZZZNS0_12_GLOBAL__N_121bessel_j0_kernel_cudaERNS_18TensorIteratorBaseEENKUlvE_clEvENKUlvE_clEvEUldE_St5arrayIPcLm2EEEEviT0_T1_,"axG",@progbits,_ZN2at6native29vectorized_elementwise_kernelILi8EZZZNS0_12_GLOBAL__N_121bessel_j0_kernel_cudaERNS_18TensorIteratorBaseEENKUlvE_clEvENKUlvE_clEvEUldE_St5arrayIPcLm2EEEEviT0_T1_,comdat
	.globl	_ZN2at6native29vectorized_elementwise_kernelILi8EZZZNS0_12_GLOBAL__N_121bessel_j0_kernel_cudaERNS_18TensorIteratorBaseEENKUlvE_clEvENKUlvE_clEvEUldE_St5arrayIPcLm2EEEEviT0_T1_ ; -- Begin function _ZN2at6native29vectorized_elementwise_kernelILi8EZZZNS0_12_GLOBAL__N_121bessel_j0_kernel_cudaERNS_18TensorIteratorBaseEENKUlvE_clEvENKUlvE_clEvEUldE_St5arrayIPcLm2EEEEviT0_T1_
	.p2align	8
	.type	_ZN2at6native29vectorized_elementwise_kernelILi8EZZZNS0_12_GLOBAL__N_121bessel_j0_kernel_cudaERNS_18TensorIteratorBaseEENKUlvE_clEvENKUlvE_clEvEUldE_St5arrayIPcLm2EEEEviT0_T1_,@function
_ZN2at6native29vectorized_elementwise_kernelILi8EZZZNS0_12_GLOBAL__N_121bessel_j0_kernel_cudaERNS_18TensorIteratorBaseEENKUlvE_clEvENKUlvE_clEvEUldE_St5arrayIPcLm2EEEEviT0_T1_: ; @_ZN2at6native29vectorized_elementwise_kernelILi8EZZZNS0_12_GLOBAL__N_121bessel_j0_kernel_cudaERNS_18TensorIteratorBaseEENKUlvE_clEvENKUlvE_clEvEUldE_St5arrayIPcLm2EEEEviT0_T1_
; %bb.0:
	s_add_u32 flat_scratch_lo, s6, s9
	s_load_dword s6, s[4:5], 0x0
	s_load_dwordx4 s[36:39], s[4:5], 0x8
	s_addc_u32 flat_scratch_hi, s7, 0
	s_add_u32 s0, s0, s9
	s_addc_u32 s1, s1, 0
	s_lshl_b32 s4, s8, 10
	s_waitcnt lgkmcnt(0)
	s_sub_i32 s40, s6, s4
	s_mov_b32 s33, s8
	v_mov_b32_e32 v41, v0
	s_cmpk_gt_i32 s40, 0x3ff
	s_mov_b64 s[4:5], -1
	s_mov_b32 s32, 0
	s_cbranch_scc1 .LBB3_3
; %bb.1:
	s_andn2_b64 vcc, exec, s[4:5]
	s_cbranch_vccz .LBB3_4
.LBB3_2:
	s_endpgm
.LBB3_3:
	s_mov_b32 s12, s33
	v_mov_b32_e32 v31, v41
	v_mov_b32_e32 v0, s36
	;; [unrolled: 1-line block ×5, first 2 shown]
	s_getpc_b64 s[4:5]
	s_add_u32 s4, s4, _ZN2at6native25elementwise_kernel_helperILb0EZZZNS0_12_GLOBAL__N_121bessel_j0_kernel_cudaERNS_18TensorIteratorBaseEENKUlvE_clEvENKUlvE_clEvEUldE_NS0_6memory8policies10vectorizedILi4ESt5arrayIPcLm2EELi4EEEEEvT0_T1_@rel32@lo+4
	s_addc_u32 s5, s5, _ZN2at6native25elementwise_kernel_helperILb0EZZZNS0_12_GLOBAL__N_121bessel_j0_kernel_cudaERNS_18TensorIteratorBaseEENKUlvE_clEvENKUlvE_clEvEUldE_NS0_6memory8policies10vectorizedILi4ESt5arrayIPcLm2EELi4EEEEEvT0_T1_@rel32@hi+12
	s_swappc_b64 s[30:31], s[4:5]
	s_cbranch_execnz .LBB3_2
.LBB3_4:
	s_mov_b32 s12, s33
	v_mov_b32_e32 v31, v41
	v_mov_b32_e32 v0, s36
	v_mov_b32_e32 v1, s37
	v_mov_b32_e32 v2, s38
	v_mov_b32_e32 v3, s39
	v_mov_b32_e32 v4, s40
	s_getpc_b64 s[4:5]
	s_add_u32 s4, s4, _ZN2at6native25elementwise_kernel_helperILb0EZZZNS0_12_GLOBAL__N_121bessel_j0_kernel_cudaERNS_18TensorIteratorBaseEENKUlvE_clEvENKUlvE_clEvEUldE_NS0_6memory8policies11unroll_baseILi256ESt5arrayIPcLm2EE23TrivialOffsetCalculatorILi1EjESF_NS8_15LoadWithoutCastENS8_16StoreWithoutCastELi4ELi1EEEEEvT0_T1_@rel32@lo+4
	s_addc_u32 s5, s5, _ZN2at6native25elementwise_kernel_helperILb0EZZZNS0_12_GLOBAL__N_121bessel_j0_kernel_cudaERNS_18TensorIteratorBaseEENKUlvE_clEvENKUlvE_clEvEUldE_NS0_6memory8policies11unroll_baseILi256ESt5arrayIPcLm2EE23TrivialOffsetCalculatorILi1EjESF_NS8_15LoadWithoutCastENS8_16StoreWithoutCastELi4ELi1EEEEEvT0_T1_@rel32@hi+12
	s_swappc_b64 s[30:31], s[4:5]
	s_endpgm
	.section	.rodata,"a",@progbits
	.p2align	6, 0x0
	.amdhsa_kernel _ZN2at6native29vectorized_elementwise_kernelILi8EZZZNS0_12_GLOBAL__N_121bessel_j0_kernel_cudaERNS_18TensorIteratorBaseEENKUlvE_clEvENKUlvE_clEvEUldE_St5arrayIPcLm2EEEEviT0_T1_
		.amdhsa_group_segment_fixed_size 0
		.amdhsa_private_segment_fixed_size 8
		.amdhsa_kernarg_size 24
		.amdhsa_user_sgpr_count 8
		.amdhsa_user_sgpr_private_segment_buffer 1
		.amdhsa_user_sgpr_dispatch_ptr 0
		.amdhsa_user_sgpr_queue_ptr 0
		.amdhsa_user_sgpr_kernarg_segment_ptr 1
		.amdhsa_user_sgpr_dispatch_id 0
		.amdhsa_user_sgpr_flat_scratch_init 1
		.amdhsa_user_sgpr_kernarg_preload_length 0
		.amdhsa_user_sgpr_kernarg_preload_offset 0
		.amdhsa_user_sgpr_private_segment_size 0
		.amdhsa_uses_dynamic_stack 0
		.amdhsa_system_sgpr_private_segment_wavefront_offset 1
		.amdhsa_system_sgpr_workgroup_id_x 1
		.amdhsa_system_sgpr_workgroup_id_y 0
		.amdhsa_system_sgpr_workgroup_id_z 0
		.amdhsa_system_sgpr_workgroup_info 0
		.amdhsa_system_vgpr_workitem_id 0
		.amdhsa_next_free_vgpr 68
		.amdhsa_next_free_sgpr 41
		.amdhsa_accum_offset 68
		.amdhsa_reserve_vcc 1
		.amdhsa_reserve_flat_scratch 1
		.amdhsa_float_round_mode_32 0
		.amdhsa_float_round_mode_16_64 0
		.amdhsa_float_denorm_mode_32 3
		.amdhsa_float_denorm_mode_16_64 3
		.amdhsa_dx10_clamp 1
		.amdhsa_ieee_mode 1
		.amdhsa_fp16_overflow 0
		.amdhsa_tg_split 0
		.amdhsa_exception_fp_ieee_invalid_op 0
		.amdhsa_exception_fp_denorm_src 0
		.amdhsa_exception_fp_ieee_div_zero 0
		.amdhsa_exception_fp_ieee_overflow 0
		.amdhsa_exception_fp_ieee_underflow 0
		.amdhsa_exception_fp_ieee_inexact 0
		.amdhsa_exception_int_div_zero 0
	.end_amdhsa_kernel
	.section	.text._ZN2at6native29vectorized_elementwise_kernelILi8EZZZNS0_12_GLOBAL__N_121bessel_j0_kernel_cudaERNS_18TensorIteratorBaseEENKUlvE_clEvENKUlvE_clEvEUldE_St5arrayIPcLm2EEEEviT0_T1_,"axG",@progbits,_ZN2at6native29vectorized_elementwise_kernelILi8EZZZNS0_12_GLOBAL__N_121bessel_j0_kernel_cudaERNS_18TensorIteratorBaseEENKUlvE_clEvENKUlvE_clEvEUldE_St5arrayIPcLm2EEEEviT0_T1_,comdat
.Lfunc_end3:
	.size	_ZN2at6native29vectorized_elementwise_kernelILi8EZZZNS0_12_GLOBAL__N_121bessel_j0_kernel_cudaERNS_18TensorIteratorBaseEENKUlvE_clEvENKUlvE_clEvEUldE_St5arrayIPcLm2EEEEviT0_T1_, .Lfunc_end3-_ZN2at6native29vectorized_elementwise_kernelILi8EZZZNS0_12_GLOBAL__N_121bessel_j0_kernel_cudaERNS_18TensorIteratorBaseEENKUlvE_clEvENKUlvE_clEvEUldE_St5arrayIPcLm2EEEEviT0_T1_
                                        ; -- End function
	.section	.AMDGPU.csdata,"",@progbits
; Kernel info:
; codeLenInByte = 188
; NumSgprs: 47
; NumVgprs: 68
; NumAgprs: 0
; TotalNumVgprs: 68
; ScratchSize: 8
; MemoryBound: 0
; FloatMode: 240
; IeeeMode: 1
; LDSByteSize: 0 bytes/workgroup (compile time only)
; SGPRBlocks: 5
; VGPRBlocks: 8
; NumSGPRsForWavesPerEU: 47
; NumVGPRsForWavesPerEU: 68
; AccumOffset: 68
; Occupancy: 7
; WaveLimiterHint : 0
; COMPUTE_PGM_RSRC2:SCRATCH_EN: 1
; COMPUTE_PGM_RSRC2:USER_SGPR: 8
; COMPUTE_PGM_RSRC2:TRAP_HANDLER: 0
; COMPUTE_PGM_RSRC2:TGID_X_EN: 1
; COMPUTE_PGM_RSRC2:TGID_Y_EN: 0
; COMPUTE_PGM_RSRC2:TGID_Z_EN: 0
; COMPUTE_PGM_RSRC2:TIDIG_COMP_CNT: 0
; COMPUTE_PGM_RSRC3_GFX90A:ACCUM_OFFSET: 16
; COMPUTE_PGM_RSRC3_GFX90A:TG_SPLIT: 0
	.section	.text._ZN2at6native29vectorized_elementwise_kernelILi4EZZZNS0_12_GLOBAL__N_121bessel_j0_kernel_cudaERNS_18TensorIteratorBaseEENKUlvE_clEvENKUlvE_clEvEUldE_St5arrayIPcLm2EEEEviT0_T1_,"axG",@progbits,_ZN2at6native29vectorized_elementwise_kernelILi4EZZZNS0_12_GLOBAL__N_121bessel_j0_kernel_cudaERNS_18TensorIteratorBaseEENKUlvE_clEvENKUlvE_clEvEUldE_St5arrayIPcLm2EEEEviT0_T1_,comdat
	.globl	_ZN2at6native29vectorized_elementwise_kernelILi4EZZZNS0_12_GLOBAL__N_121bessel_j0_kernel_cudaERNS_18TensorIteratorBaseEENKUlvE_clEvENKUlvE_clEvEUldE_St5arrayIPcLm2EEEEviT0_T1_ ; -- Begin function _ZN2at6native29vectorized_elementwise_kernelILi4EZZZNS0_12_GLOBAL__N_121bessel_j0_kernel_cudaERNS_18TensorIteratorBaseEENKUlvE_clEvENKUlvE_clEvEUldE_St5arrayIPcLm2EEEEviT0_T1_
	.p2align	8
	.type	_ZN2at6native29vectorized_elementwise_kernelILi4EZZZNS0_12_GLOBAL__N_121bessel_j0_kernel_cudaERNS_18TensorIteratorBaseEENKUlvE_clEvENKUlvE_clEvEUldE_St5arrayIPcLm2EEEEviT0_T1_,@function
_ZN2at6native29vectorized_elementwise_kernelILi4EZZZNS0_12_GLOBAL__N_121bessel_j0_kernel_cudaERNS_18TensorIteratorBaseEENKUlvE_clEvENKUlvE_clEvEUldE_St5arrayIPcLm2EEEEviT0_T1_: ; @_ZN2at6native29vectorized_elementwise_kernelILi4EZZZNS0_12_GLOBAL__N_121bessel_j0_kernel_cudaERNS_18TensorIteratorBaseEENKUlvE_clEvENKUlvE_clEvEUldE_St5arrayIPcLm2EEEEviT0_T1_
; %bb.0:
	s_add_u32 flat_scratch_lo, s6, s9
	s_load_dword s6, s[4:5], 0x0
	s_load_dwordx4 s[36:39], s[4:5], 0x8
	s_addc_u32 flat_scratch_hi, s7, 0
	s_add_u32 s0, s0, s9
	s_addc_u32 s1, s1, 0
	s_lshl_b32 s4, s8, 10
	s_waitcnt lgkmcnt(0)
	s_sub_i32 s40, s6, s4
	s_mov_b32 s33, s8
	v_mov_b32_e32 v41, v0
	s_cmpk_gt_i32 s40, 0x3ff
	s_mov_b64 s[4:5], -1
	s_mov_b32 s32, 0
	s_cbranch_scc1 .LBB4_3
; %bb.1:
	s_andn2_b64 vcc, exec, s[4:5]
	s_cbranch_vccz .LBB4_4
.LBB4_2:
	s_endpgm
.LBB4_3:
	s_mov_b32 s12, s33
	v_mov_b32_e32 v31, v41
	v_mov_b32_e32 v0, s36
	;; [unrolled: 1-line block ×5, first 2 shown]
	s_getpc_b64 s[4:5]
	s_add_u32 s4, s4, _ZN2at6native25elementwise_kernel_helperILb0EZZZNS0_12_GLOBAL__N_121bessel_j0_kernel_cudaERNS_18TensorIteratorBaseEENKUlvE_clEvENKUlvE_clEvEUldE_NS0_6memory8policies10vectorizedILi4ESt5arrayIPcLm2EELi4EEEEEvT0_T1_@rel32@lo+4
	s_addc_u32 s5, s5, _ZN2at6native25elementwise_kernel_helperILb0EZZZNS0_12_GLOBAL__N_121bessel_j0_kernel_cudaERNS_18TensorIteratorBaseEENKUlvE_clEvENKUlvE_clEvEUldE_NS0_6memory8policies10vectorizedILi4ESt5arrayIPcLm2EELi4EEEEEvT0_T1_@rel32@hi+12
	s_swappc_b64 s[30:31], s[4:5]
	s_cbranch_execnz .LBB4_2
.LBB4_4:
	s_mov_b32 s12, s33
	v_mov_b32_e32 v31, v41
	v_mov_b32_e32 v0, s36
	;; [unrolled: 1-line block ×6, first 2 shown]
	s_getpc_b64 s[4:5]
	s_add_u32 s4, s4, _ZN2at6native25elementwise_kernel_helperILb0EZZZNS0_12_GLOBAL__N_121bessel_j0_kernel_cudaERNS_18TensorIteratorBaseEENKUlvE_clEvENKUlvE_clEvEUldE_NS0_6memory8policies11unroll_baseILi256ESt5arrayIPcLm2EE23TrivialOffsetCalculatorILi1EjESF_NS8_15LoadWithoutCastENS8_16StoreWithoutCastELi4ELi1EEEEEvT0_T1_@rel32@lo+4
	s_addc_u32 s5, s5, _ZN2at6native25elementwise_kernel_helperILb0EZZZNS0_12_GLOBAL__N_121bessel_j0_kernel_cudaERNS_18TensorIteratorBaseEENKUlvE_clEvENKUlvE_clEvEUldE_NS0_6memory8policies11unroll_baseILi256ESt5arrayIPcLm2EE23TrivialOffsetCalculatorILi1EjESF_NS8_15LoadWithoutCastENS8_16StoreWithoutCastELi4ELi1EEEEEvT0_T1_@rel32@hi+12
	s_swappc_b64 s[30:31], s[4:5]
	s_endpgm
	.section	.rodata,"a",@progbits
	.p2align	6, 0x0
	.amdhsa_kernel _ZN2at6native29vectorized_elementwise_kernelILi4EZZZNS0_12_GLOBAL__N_121bessel_j0_kernel_cudaERNS_18TensorIteratorBaseEENKUlvE_clEvENKUlvE_clEvEUldE_St5arrayIPcLm2EEEEviT0_T1_
		.amdhsa_group_segment_fixed_size 0
		.amdhsa_private_segment_fixed_size 8
		.amdhsa_kernarg_size 24
		.amdhsa_user_sgpr_count 8
		.amdhsa_user_sgpr_private_segment_buffer 1
		.amdhsa_user_sgpr_dispatch_ptr 0
		.amdhsa_user_sgpr_queue_ptr 0
		.amdhsa_user_sgpr_kernarg_segment_ptr 1
		.amdhsa_user_sgpr_dispatch_id 0
		.amdhsa_user_sgpr_flat_scratch_init 1
		.amdhsa_user_sgpr_kernarg_preload_length 0
		.amdhsa_user_sgpr_kernarg_preload_offset 0
		.amdhsa_user_sgpr_private_segment_size 0
		.amdhsa_uses_dynamic_stack 0
		.amdhsa_system_sgpr_private_segment_wavefront_offset 1
		.amdhsa_system_sgpr_workgroup_id_x 1
		.amdhsa_system_sgpr_workgroup_id_y 0
		.amdhsa_system_sgpr_workgroup_id_z 0
		.amdhsa_system_sgpr_workgroup_info 0
		.amdhsa_system_vgpr_workitem_id 0
		.amdhsa_next_free_vgpr 68
		.amdhsa_next_free_sgpr 41
		.amdhsa_accum_offset 68
		.amdhsa_reserve_vcc 1
		.amdhsa_reserve_flat_scratch 1
		.amdhsa_float_round_mode_32 0
		.amdhsa_float_round_mode_16_64 0
		.amdhsa_float_denorm_mode_32 3
		.amdhsa_float_denorm_mode_16_64 3
		.amdhsa_dx10_clamp 1
		.amdhsa_ieee_mode 1
		.amdhsa_fp16_overflow 0
		.amdhsa_tg_split 0
		.amdhsa_exception_fp_ieee_invalid_op 0
		.amdhsa_exception_fp_denorm_src 0
		.amdhsa_exception_fp_ieee_div_zero 0
		.amdhsa_exception_fp_ieee_overflow 0
		.amdhsa_exception_fp_ieee_underflow 0
		.amdhsa_exception_fp_ieee_inexact 0
		.amdhsa_exception_int_div_zero 0
	.end_amdhsa_kernel
	.section	.text._ZN2at6native29vectorized_elementwise_kernelILi4EZZZNS0_12_GLOBAL__N_121bessel_j0_kernel_cudaERNS_18TensorIteratorBaseEENKUlvE_clEvENKUlvE_clEvEUldE_St5arrayIPcLm2EEEEviT0_T1_,"axG",@progbits,_ZN2at6native29vectorized_elementwise_kernelILi4EZZZNS0_12_GLOBAL__N_121bessel_j0_kernel_cudaERNS_18TensorIteratorBaseEENKUlvE_clEvENKUlvE_clEvEUldE_St5arrayIPcLm2EEEEviT0_T1_,comdat
.Lfunc_end4:
	.size	_ZN2at6native29vectorized_elementwise_kernelILi4EZZZNS0_12_GLOBAL__N_121bessel_j0_kernel_cudaERNS_18TensorIteratorBaseEENKUlvE_clEvENKUlvE_clEvEUldE_St5arrayIPcLm2EEEEviT0_T1_, .Lfunc_end4-_ZN2at6native29vectorized_elementwise_kernelILi4EZZZNS0_12_GLOBAL__N_121bessel_j0_kernel_cudaERNS_18TensorIteratorBaseEENKUlvE_clEvENKUlvE_clEvEUldE_St5arrayIPcLm2EEEEviT0_T1_
                                        ; -- End function
	.section	.AMDGPU.csdata,"",@progbits
; Kernel info:
; codeLenInByte = 188
; NumSgprs: 47
; NumVgprs: 68
; NumAgprs: 0
; TotalNumVgprs: 68
; ScratchSize: 8
; MemoryBound: 0
; FloatMode: 240
; IeeeMode: 1
; LDSByteSize: 0 bytes/workgroup (compile time only)
; SGPRBlocks: 5
; VGPRBlocks: 8
; NumSGPRsForWavesPerEU: 47
; NumVGPRsForWavesPerEU: 68
; AccumOffset: 68
; Occupancy: 7
; WaveLimiterHint : 0
; COMPUTE_PGM_RSRC2:SCRATCH_EN: 1
; COMPUTE_PGM_RSRC2:USER_SGPR: 8
; COMPUTE_PGM_RSRC2:TRAP_HANDLER: 0
; COMPUTE_PGM_RSRC2:TGID_X_EN: 1
; COMPUTE_PGM_RSRC2:TGID_Y_EN: 0
; COMPUTE_PGM_RSRC2:TGID_Z_EN: 0
; COMPUTE_PGM_RSRC2:TIDIG_COMP_CNT: 0
; COMPUTE_PGM_RSRC3_GFX90A:ACCUM_OFFSET: 16
; COMPUTE_PGM_RSRC3_GFX90A:TG_SPLIT: 0
	.section	.text._ZN2at6native29vectorized_elementwise_kernelILi2EZZZNS0_12_GLOBAL__N_121bessel_j0_kernel_cudaERNS_18TensorIteratorBaseEENKUlvE_clEvENKUlvE_clEvEUldE_St5arrayIPcLm2EEEEviT0_T1_,"axG",@progbits,_ZN2at6native29vectorized_elementwise_kernelILi2EZZZNS0_12_GLOBAL__N_121bessel_j0_kernel_cudaERNS_18TensorIteratorBaseEENKUlvE_clEvENKUlvE_clEvEUldE_St5arrayIPcLm2EEEEviT0_T1_,comdat
	.globl	_ZN2at6native29vectorized_elementwise_kernelILi2EZZZNS0_12_GLOBAL__N_121bessel_j0_kernel_cudaERNS_18TensorIteratorBaseEENKUlvE_clEvENKUlvE_clEvEUldE_St5arrayIPcLm2EEEEviT0_T1_ ; -- Begin function _ZN2at6native29vectorized_elementwise_kernelILi2EZZZNS0_12_GLOBAL__N_121bessel_j0_kernel_cudaERNS_18TensorIteratorBaseEENKUlvE_clEvENKUlvE_clEvEUldE_St5arrayIPcLm2EEEEviT0_T1_
	.p2align	8
	.type	_ZN2at6native29vectorized_elementwise_kernelILi2EZZZNS0_12_GLOBAL__N_121bessel_j0_kernel_cudaERNS_18TensorIteratorBaseEENKUlvE_clEvENKUlvE_clEvEUldE_St5arrayIPcLm2EEEEviT0_T1_,@function
_ZN2at6native29vectorized_elementwise_kernelILi2EZZZNS0_12_GLOBAL__N_121bessel_j0_kernel_cudaERNS_18TensorIteratorBaseEENKUlvE_clEvENKUlvE_clEvEUldE_St5arrayIPcLm2EEEEviT0_T1_: ; @_ZN2at6native29vectorized_elementwise_kernelILi2EZZZNS0_12_GLOBAL__N_121bessel_j0_kernel_cudaERNS_18TensorIteratorBaseEENKUlvE_clEvENKUlvE_clEvEUldE_St5arrayIPcLm2EEEEviT0_T1_
; %bb.0:
	s_add_u32 flat_scratch_lo, s6, s9
	s_load_dword s6, s[4:5], 0x0
	s_load_dwordx4 s[16:19], s[4:5], 0x8
	s_addc_u32 flat_scratch_hi, s7, 0
	s_add_u32 s0, s0, s9
	s_addc_u32 s1, s1, 0
	s_lshl_b32 s4, s8, 10
	s_waitcnt lgkmcnt(0)
	s_sub_i32 s9, s6, s4
	s_cmpk_gt_i32 s9, 0x3ff
	s_mov_b64 s[6:7], -1
	s_mov_b32 s32, 0
	s_cbranch_scc0 .LBB5_10
; %bb.1:
	s_ashr_i32 s5, s4, 31
	s_lshl_b64 s[6:7], s[4:5], 3
	s_add_u32 s4, s18, s6
	s_addc_u32 s5, s19, s7
	v_lshlrev_b32_e32 v1, 4, v0
	v_mov_b32_e32 v2, s5
	v_add_co_u32_e32 v3, vcc, s4, v1
	v_addc_co_u32_e32 v4, vcc, 0, v2, vcc
	global_load_dwordx4 v[8:11], v1, s[4:5]
	v_add_co_u32_e32 v2, vcc, 0x1000, v3
	v_addc_co_u32_e32 v3, vcc, 0, v4, vcc
	global_load_dwordx4 v[2:5], v[2:3], off
	s_mov_b32 s4, 0
	s_mov_b32 s5, 0x40140000
	s_waitcnt vmcnt(1)
	v_xor_b32_e32 v6, 0x80000000, v9
	v_cmp_gt_f64_e32 vcc, 0, v[8:9]
	v_cndmask_b32_e32 v9, v9, v6, vcc
	v_cmp_ge_f64_e32 vcc, s[4:5], v[8:9]
	v_mul_f64 v[12:13], v[8:9], v[8:9]
                                        ; implicit-def: $vgpr6_vgpr7
	s_and_saveexec_b64 s[4:5], vcc
	s_xor_b64 s[4:5], exec, s[4:5]
	s_cbranch_execz .LBB5_7
; %bb.2:
	s_mov_b32 s10, 0x88e368f1
	s_mov_b32 s11, 0x3ee4f8b5
	v_cmp_ngt_f64_e32 vcc, s[10:11], v[8:9]
                                        ; implicit-def: $vgpr6_vgpr7
	s_and_saveexec_b64 s[10:11], vcc
	s_xor_b64 s[10:11], exec, s[10:11]
	s_cbranch_execz .LBB5_4
; %bb.3:
	v_mov_b32_e32 v6, 0xad1c8325
	v_mov_b32_e32 v7, 0xc1f1dc53
	v_fmac_f64_e32 v[6:7], 0, v[12:13]
	v_mov_b32_e32 v8, 0xc772990d
	v_mov_b32_e32 v9, 0x427c7751
	v_fmac_f64_e32 v[8:9], v[12:13], v[6:7]
	v_mov_b32_e32 v6, 0xe0d900f7
	v_mov_b32_e32 v7, 0xc2ec5614
	v_fmac_f64_e32 v[6:7], v[12:13], v[8:9]
	v_mov_b32_e32 v8, 0xa696b78c
	v_mov_b32_e32 v9, 0x407f3902
	v_fmac_f64_e32 v[8:9], 0, v[12:13]
	v_mov_b32_e32 v14, 0x36a21a67
	v_mov_b32_e32 v15, 0x410536cb
	v_fmac_f64_e32 v[14:15], v[12:13], v[8:9]
	v_mov_b32_e32 v8, 0x2eac0634
	v_mov_b32_e32 v9, 0x41871934
	v_fmac_f64_e32 v[8:9], v[12:13], v[14:15]
	v_mov_b32_e32 v14, 0x9444914
	v_mov_b32_e32 v15, 0x4204d5b0
	v_fmac_f64_e32 v[14:15], v[12:13], v[8:9]
	v_mov_b32_e32 v8, 0x72182e46
	v_mov_b32_e32 v9, 0x427ebeb3
	v_fmac_f64_e32 v[8:9], v[12:13], v[14:15]
	v_mov_b32_e32 v14, 0x8c9748e9
	v_mov_b32_e32 v15, 0x42f1a6a2
	v_fmac_f64_e32 v[14:15], v[12:13], v[8:9]
	v_mov_b32_e32 v8, 0x7e7b2e9c
	v_mov_b32_e32 v9, 0x435c4141
	v_fmac_f64_e32 v[8:9], v[12:13], v[14:15]
	v_mov_b32_e32 v14, 0xc7b662cc
	v_mov_b32_e32 v15, 0x43b7be34
	s_mov_b32 s12, 0x80462bbb
	v_fmac_f64_e32 v[14:15], v[12:13], v[8:9]
	v_mov_b32_e32 v8, 0x69ff5fb4
	v_mov_b32_e32 v9, 0x43413ef8
	s_mov_b32 s13, 0xc01721fb
	v_fmac_f64_e32 v[8:9], v[12:13], v[6:7]
	v_add_f64 v[6:7], v[12:13], s[12:13]
	s_mov_b32 s12, 0xa621dd6f
	s_mov_b32 s13, 0xc03e78a4
	v_add_f64 v[12:13], v[12:13], s[12:13]
	v_mul_f64 v[6:7], v[6:7], v[12:13]
	v_mul_f64 v[6:7], v[6:7], v[8:9]
	v_div_scale_f64 v[8:9], s[12:13], v[14:15], v[14:15], v[6:7]
	v_rcp_f64_e32 v[12:13], v[8:9]
	v_fma_f64 v[16:17], -v[8:9], v[12:13], 1.0
	v_fmac_f64_e32 v[12:13], v[12:13], v[16:17]
	v_fma_f64 v[16:17], -v[8:9], v[12:13], 1.0
	v_fmac_f64_e32 v[12:13], v[12:13], v[16:17]
	v_div_scale_f64 v[16:17], vcc, v[6:7], v[14:15], v[6:7]
	v_mul_f64 v[18:19], v[16:17], v[12:13]
	v_fma_f64 v[8:9], -v[8:9], v[18:19], v[16:17]
	s_nop 1
	v_div_fmas_f64 v[8:9], v[8:9], v[12:13], v[18:19]
	v_div_fixup_f64 v[6:7], v[8:9], v[14:15], v[6:7]
                                        ; implicit-def: $vgpr12_vgpr13
.LBB5_4:
	s_andn2_saveexec_b64 s[10:11], s[10:11]
; %bb.5:
	s_mov_b32 s12, 0
	s_mov_b32 s13, 0xbfd00000
	v_fma_f64 v[6:7], v[12:13], s[12:13], 1.0
; %bb.6:
	s_or_b64 exec, exec, s[10:11]
                                        ; implicit-def: $vgpr12_vgpr13
.LBB5_7:
	s_andn2_saveexec_b64 s[10:11], s[4:5]
	s_cbranch_execz .LBB5_19
; %bb.8:
	s_mov_b32 s15, 0xbfe921fb
	s_mov_b32 s14, 0x54442d18
	;; [unrolled: 1-line block ×3, first 2 shown]
	v_add_f64 v[6:7], v[8:9], s[14:15]
	s_mov_b32 s5, 0x41d00000
	v_cmp_nlt_f64_e64 s[12:13], |v[6:7]|, s[4:5]
	v_trig_preop_f64 v[26:27], |v[6:7]|, 0
	v_trig_preop_f64 v[24:25], |v[6:7]|, 1
	;; [unrolled: 1-line block ×3, first 2 shown]
                                        ; implicit-def: $vgpr28
                                        ; implicit-def: $vgpr14_vgpr15
                                        ; implicit-def: $vgpr16_vgpr17
	s_and_saveexec_b64 s[4:5], s[12:13]
	s_xor_b64 s[20:21], exec, s[4:5]
	s_cbranch_execz .LBB5_12
; %bb.9:
	s_mov_b32 s4, 0
	s_mov_b32 s5, 0x7b000000
	s_movk_i32 s15, 0xff80
	v_and_b32_e32 v16, 0x7fffffff, v7
	v_ldexp_f64 v[14:15], |v[6:7]|, s15
	v_cmp_ge_f64_e64 vcc, |v[6:7]|, s[4:5]
	v_cndmask_b32_e32 v15, v16, v15, vcc
	v_cndmask_b32_e32 v14, v6, v14, vcc
	v_mul_f64 v[18:19], v[26:27], v[14:15]
	v_mul_f64 v[16:17], v[24:25], v[14:15]
	v_fma_f64 v[20:21], v[26:27], v[14:15], -v[18:19]
	v_add_f64 v[28:29], v[16:17], v[20:21]
	v_add_f64 v[30:31], v[18:19], v[28:29]
	s_mov_b32 s4, 0
	v_ldexp_f64 v[32:33], v[30:31], -2
	s_mov_b32 s5, 0x7ff00000
	v_fract_f64_e32 v[34:35], v[32:33]
	v_cmp_neq_f64_e64 vcc, |v[32:33]|, s[4:5]
	v_cndmask_b32_e32 v33, 0, v35, vcc
	v_cndmask_b32_e32 v32, 0, v34, vcc
	v_add_f64 v[34:35], v[28:29], -v[16:17]
	v_add_f64 v[20:21], v[20:21], -v[34:35]
	;; [unrolled: 1-line block ×4, first 2 shown]
	v_add_f64 v[20:21], v[20:21], v[34:35]
	v_fma_f64 v[16:17], v[24:25], v[14:15], -v[16:17]
	v_mul_f64 v[34:35], v[22:23], v[14:15]
	v_add_f64 v[38:39], v[34:35], v[16:17]
	v_add_f64 v[40:41], v[38:39], v[20:21]
	v_add_f64 v[18:19], v[30:31], -v[18:19]
	v_add_f64 v[30:31], v[40:41], -v[38:39]
	v_add_f64 v[20:21], v[20:21], -v[30:31]
	v_add_f64 v[30:31], v[40:41], -v[30:31]
	v_add_f64 v[30:31], v[38:39], -v[30:31]
	v_add_f64 v[20:21], v[20:21], v[30:31]
	v_add_f64 v[30:31], v[38:39], -v[34:35]
	v_add_f64 v[16:17], v[16:17], -v[30:31]
	;; [unrolled: 1-line block ×5, first 2 shown]
	v_add_f64 v[28:29], v[18:19], v[40:41]
	v_add_f64 v[16:17], v[16:17], v[30:31]
	v_add_f64 v[18:19], v[28:29], -v[18:19]
	v_add_f64 v[16:17], v[16:17], v[20:21]
	v_fma_f64 v[14:15], v[22:23], v[14:15], -v[34:35]
	v_add_f64 v[18:19], v[40:41], -v[18:19]
	v_add_f64 v[14:15], v[14:15], v[16:17]
	v_ldexp_f64 v[16:17], v[32:33], 2
	v_add_f64 v[14:15], v[18:19], v[14:15]
	v_add_f64 v[18:19], v[28:29], v[16:17]
	v_mov_b32_e32 v20, 0x40100000
	v_cmp_gt_f64_e32 vcc, 0, v[18:19]
	v_mov_b32_e32 v36, 0
	v_cndmask_b32_e32 v37, 0, v20, vcc
	v_add_f64 v[16:17], v[16:17], v[36:37]
	v_add_f64 v[18:19], v[28:29], v[16:17]
	v_cvt_i32_f64_e32 v20, v[18:19]
	v_cvt_f64_i32_e32 v[18:19], v20
	v_add_f64 v[16:17], v[16:17], -v[18:19]
	v_add_f64 v[18:19], v[28:29], v[16:17]
	v_add_f64 v[16:17], v[18:19], -v[16:17]
	v_add_f64 v[16:17], v[28:29], -v[16:17]
	v_add_f64 v[14:15], v[14:15], v[16:17]
	v_cmp_le_f64_e32 vcc, 0.5, v[18:19]
	v_mov_b32_e32 v16, 0x3ff00000
	v_cndmask_b32_e32 v37, 0, v16, vcc
	v_add_f64 v[16:17], v[18:19], -v[36:37]
	v_add_f64 v[18:19], v[16:17], v[14:15]
	v_addc_co_u32_e64 v28, s[4:5], 0, v20, vcc
	v_add_f64 v[16:17], v[18:19], -v[16:17]
	s_mov_b32 s15, 0x3ff921fb
	v_add_f64 v[14:15], v[14:15], -v[16:17]
	v_mul_f64 v[16:17], v[18:19], s[14:15]
	s_mov_b32 s4, 0x33145c07
	v_fma_f64 v[20:21], v[18:19], s[14:15], -v[16:17]
	s_mov_b32 s5, 0x3c91a626
	v_fmac_f64_e32 v[20:21], s[4:5], v[18:19]
	v_fmac_f64_e32 v[20:21], s[14:15], v[14:15]
	v_add_f64 v[14:15], v[16:17], v[20:21]
	v_add_f64 v[16:17], v[14:15], -v[16:17]
	v_add_f64 v[16:17], v[20:21], -v[16:17]
	s_andn2_saveexec_b64 s[4:5], s[20:21]
	s_cbranch_execz .LBB5_14
	s_branch .LBB5_13
.LBB5_10:
	s_and_b64 vcc, exec, s[6:7]
	s_cbranch_vccz .LBB5_68
; %bb.11:
	s_mov_b32 s12, s8
	v_mov_b32_e32 v31, v0
	v_mov_b32_e32 v0, s16
	;; [unrolled: 1-line block ×6, first 2 shown]
	s_getpc_b64 s[4:5]
	s_add_u32 s4, s4, _ZN2at6native25elementwise_kernel_helperILb0EZZZNS0_12_GLOBAL__N_121bessel_j0_kernel_cudaERNS_18TensorIteratorBaseEENKUlvE_clEvENKUlvE_clEvEUldE_NS0_6memory8policies11unroll_baseILi256ESt5arrayIPcLm2EE23TrivialOffsetCalculatorILi1EjESF_NS8_15LoadWithoutCastENS8_16StoreWithoutCastELi4ELi1EEEEEvT0_T1_@rel32@lo+4
	s_addc_u32 s5, s5, _ZN2at6native25elementwise_kernel_helperILb0EZZZNS0_12_GLOBAL__N_121bessel_j0_kernel_cudaERNS_18TensorIteratorBaseEENKUlvE_clEvENKUlvE_clEvEUldE_NS0_6memory8policies11unroll_baseILi256ESt5arrayIPcLm2EE23TrivialOffsetCalculatorILi1EjESF_NS8_15LoadWithoutCastENS8_16StoreWithoutCastELi4ELi1EEEEEvT0_T1_@rel32@hi+12
	s_swappc_b64 s[30:31], s[4:5]
	s_endpgm
.LBB5_12:
	s_andn2_saveexec_b64 s[4:5], s[20:21]
	s_cbranch_execz .LBB5_14
.LBB5_13:
	s_mov_b32 s14, 0x6dc9c883
	s_mov_b32 s15, 0x3fe45f30
	v_mul_f64 v[14:15], |v[6:7]|, s[14:15]
	s_mov_b32 s14, 0x54442d18
	v_rndne_f64_e32 v[18:19], v[14:15]
	s_mov_b32 s15, 0xbff921fb
	v_fma_f64 v[14:15], v[18:19], s[14:15], |v[6:7]|
	s_mov_b32 s15, 0xbc91a626
	s_mov_b32 s14, 0x33145c00
	v_mul_f64 v[20:21], v[18:19], s[14:15]
	v_add_f64 v[30:31], v[14:15], v[20:21]
	v_fma_f64 v[16:17], s[14:15], v[18:19], v[14:15]
	s_mov_b32 s15, 0x3c91a626
	v_add_f64 v[14:15], v[14:15], -v[30:31]
	v_fma_f64 v[28:29], s[14:15], v[18:19], v[20:21]
	v_add_f64 v[14:15], v[14:15], v[20:21]
	v_add_f64 v[20:21], v[30:31], -v[16:17]
	v_add_f64 v[14:15], v[20:21], v[14:15]
	s_mov_b32 s14, 0x252049c0
	v_add_f64 v[20:21], v[14:15], -v[28:29]
	s_mov_b32 s15, 0xb97b839a
	v_fmac_f64_e32 v[20:21], s[14:15], v[18:19]
	v_add_f64 v[14:15], v[16:17], v[20:21]
	v_add_f64 v[16:17], v[14:15], -v[16:17]
	v_add_f64 v[16:17], v[20:21], -v[16:17]
	v_cvt_i32_f64_e32 v28, v[18:19]
.LBB5_14:
	s_or_b64 exec, exec, s[4:5]
                                        ; implicit-def: $vgpr29
                                        ; implicit-def: $vgpr18_vgpr19
                                        ; implicit-def: $vgpr20_vgpr21
	s_and_saveexec_b64 s[4:5], s[12:13]
	s_xor_b64 s[12:13], exec, s[4:5]
	s_cbranch_execz .LBB5_16
; %bb.15:
	s_mov_b32 s4, 0
	s_mov_b32 s5, 0x7b000000
	s_movk_i32 s14, 0xff80
	v_and_b32_e32 v20, 0x7fffffff, v7
	v_ldexp_f64 v[18:19], |v[6:7]|, s14
	v_cmp_ge_f64_e64 vcc, |v[6:7]|, s[4:5]
	v_cndmask_b32_e32 v19, v20, v19, vcc
	v_cndmask_b32_e32 v18, v6, v18, vcc
	v_mul_f64 v[30:31], v[26:27], v[18:19]
	v_mul_f64 v[20:21], v[24:25], v[18:19]
	v_fma_f64 v[26:27], v[26:27], v[18:19], -v[30:31]
	v_add_f64 v[32:33], v[20:21], v[26:27]
	v_add_f64 v[34:35], v[30:31], v[32:33]
	s_mov_b32 s4, 0
	v_ldexp_f64 v[36:37], v[34:35], -2
	s_mov_b32 s5, 0x7ff00000
	v_fract_f64_e32 v[38:39], v[36:37]
	v_cmp_neq_f64_e64 vcc, |v[36:37]|, s[4:5]
	v_cndmask_b32_e32 v37, 0, v39, vcc
	v_cndmask_b32_e32 v36, 0, v38, vcc
	v_add_f64 v[38:39], v[32:33], -v[20:21]
	v_add_f64 v[26:27], v[26:27], -v[38:39]
	;; [unrolled: 1-line block ×4, first 2 shown]
	v_fma_f64 v[20:21], v[24:25], v[18:19], -v[20:21]
	v_mul_f64 v[24:25], v[22:23], v[18:19]
	v_add_f64 v[26:27], v[26:27], v[38:39]
	v_add_f64 v[38:39], v[24:25], v[20:21]
	;; [unrolled: 1-line block ×3, first 2 shown]
	v_add_f64 v[30:31], v[34:35], -v[30:31]
	v_add_f64 v[34:35], v[42:43], -v[38:39]
	;; [unrolled: 1-line block ×5, first 2 shown]
	v_add_f64 v[26:27], v[26:27], v[34:35]
	v_add_f64 v[34:35], v[38:39], -v[24:25]
	v_add_f64 v[20:21], v[20:21], -v[34:35]
	;; [unrolled: 1-line block ×4, first 2 shown]
	v_add_f64 v[20:21], v[20:21], v[34:35]
	v_add_f64 v[30:31], v[32:33], -v[30:31]
	v_add_f64 v[20:21], v[20:21], v[26:27]
	v_fma_f64 v[18:19], v[22:23], v[18:19], -v[24:25]
	v_add_f64 v[32:33], v[30:31], v[42:43]
	v_add_f64 v[18:19], v[18:19], v[20:21]
	v_ldexp_f64 v[20:21], v[36:37], 2
	v_add_f64 v[22:23], v[32:33], v[20:21]
	v_mov_b32_e32 v24, 0x40100000
	v_cmp_gt_f64_e32 vcc, 0, v[22:23]
	v_mov_b32_e32 v40, 0
	v_cndmask_b32_e32 v41, 0, v24, vcc
	v_add_f64 v[20:21], v[20:21], v[40:41]
	v_add_f64 v[22:23], v[32:33], v[20:21]
	v_cvt_i32_f64_e32 v24, v[22:23]
	v_cvt_f64_i32_e32 v[22:23], v24
	v_add_f64 v[20:21], v[20:21], -v[22:23]
	v_add_f64 v[30:31], v[32:33], -v[30:31]
	v_add_f64 v[22:23], v[32:33], v[20:21]
	v_add_f64 v[30:31], v[42:43], -v[30:31]
	v_add_f64 v[20:21], v[22:23], -v[20:21]
	v_add_f64 v[18:19], v[30:31], v[18:19]
	v_add_f64 v[20:21], v[32:33], -v[20:21]
	v_add_f64 v[18:19], v[18:19], v[20:21]
	v_cmp_le_f64_e32 vcc, 0.5, v[22:23]
	v_mov_b32_e32 v20, 0x3ff00000
	v_cndmask_b32_e32 v41, 0, v20, vcc
	v_addc_co_u32_e64 v29, s[4:5], 0, v24, vcc
	v_add_f64 v[20:21], v[22:23], -v[40:41]
	v_add_f64 v[22:23], v[20:21], v[18:19]
	s_mov_b32 s4, 0x54442d18
	v_add_f64 v[20:21], v[22:23], -v[20:21]
	s_mov_b32 s5, 0x3ff921fb
	v_add_f64 v[18:19], v[18:19], -v[20:21]
	v_mul_f64 v[20:21], v[22:23], s[4:5]
	s_mov_b32 s14, 0x33145c07
	v_fma_f64 v[24:25], v[22:23], s[4:5], -v[20:21]
	s_mov_b32 s15, 0x3c91a626
	v_fmac_f64_e32 v[24:25], s[14:15], v[22:23]
	v_fmac_f64_e32 v[24:25], s[4:5], v[18:19]
	v_add_f64 v[18:19], v[20:21], v[24:25]
	v_add_f64 v[20:21], v[18:19], -v[20:21]
	v_add_f64 v[20:21], v[24:25], -v[20:21]
	s_andn2_saveexec_b64 s[4:5], s[12:13]
	s_cbranch_execnz .LBB5_17
	s_branch .LBB5_18
.LBB5_16:
	s_andn2_saveexec_b64 s[4:5], s[12:13]
	s_cbranch_execz .LBB5_18
.LBB5_17:
	s_mov_b32 s12, 0x6dc9c883
	s_mov_b32 s13, 0x3fe45f30
	v_mul_f64 v[18:19], |v[6:7]|, s[12:13]
	s_mov_b32 s12, 0x54442d18
	v_rndne_f64_e32 v[22:23], v[18:19]
	s_mov_b32 s13, 0xbff921fb
	v_fma_f64 v[18:19], v[22:23], s[12:13], |v[6:7]|
	s_mov_b32 s13, 0xbc91a626
	s_mov_b32 s12, 0x33145c00
	v_mul_f64 v[24:25], v[22:23], s[12:13]
	v_add_f64 v[30:31], v[18:19], v[24:25]
	v_fma_f64 v[20:21], s[12:13], v[22:23], v[18:19]
	s_mov_b32 s13, 0x3c91a626
	v_add_f64 v[18:19], v[18:19], -v[30:31]
	v_fma_f64 v[26:27], s[12:13], v[22:23], v[24:25]
	v_add_f64 v[18:19], v[18:19], v[24:25]
	v_add_f64 v[24:25], v[30:31], -v[20:21]
	v_add_f64 v[18:19], v[24:25], v[18:19]
	s_mov_b32 s12, 0x252049c0
	v_add_f64 v[24:25], v[18:19], -v[26:27]
	s_mov_b32 s13, 0xb97b839a
	v_fmac_f64_e32 v[24:25], s[12:13], v[22:23]
	v_add_f64 v[18:19], v[20:21], v[24:25]
	v_add_f64 v[20:21], v[18:19], -v[20:21]
	v_add_f64 v[20:21], v[24:25], -v[20:21]
	v_cvt_i32_f64_e32 v29, v[22:23]
.LBB5_18:
	s_or_b64 exec, exec, s[4:5]
	s_mov_b32 s4, 0
	s_mov_b32 s5, 0x40390000
	v_div_scale_f64 v[22:23], s[12:13], v[12:13], v[12:13], s[4:5]
	v_rcp_f64_e32 v[24:25], v[22:23]
	v_mov_b32_e32 v32, 0xb1759c7f
	v_mov_b32_e32 v33, 0x408ac370
	;; [unrolled: 1-line block ×3, first 2 shown]
	v_fma_f64 v[26:27], -v[22:23], v[24:25], 1.0
	v_fmac_f64_e32 v[24:25], v[24:25], v[26:27]
	v_fma_f64 v[26:27], -v[22:23], v[24:25], 1.0
	v_fmac_f64_e32 v[24:25], v[24:25], v[26:27]
	v_div_scale_f64 v[26:27], vcc, s[4:5], v[12:13], s[4:5]
	v_mul_f64 v[30:31], v[26:27], v[24:25]
	v_fma_f64 v[22:23], -v[22:23], v[30:31], v[26:27]
	v_mov_b32_e32 v26, 0xab5454e3
	s_nop 0
	v_div_fmas_f64 v[22:23], v[22:23], v[24:25], v[30:31]
	v_div_fixup_f64 v[12:13], v[22:23], v[12:13], s[4:5]
	v_mov_b32_e32 v22, 0x983b6b27
	v_mov_b32_e32 v23, 0x3f4a1d30
	v_fmac_f64_e32 v[22:23], 0, v[12:13]
	v_mov_b32_e32 v24, 0xb35dd1cf
	v_mov_b32_e32 v25, 0x3fb534b0
	v_fmac_f64_e32 v[24:25], v[12:13], v[22:23]
	;; [unrolled: 3-line block ×7, first 2 shown]
	v_mov_b32_e32 v27, 0x3fb5ebc5
	v_fmac_f64_e32 v[26:27], v[12:13], v[22:23]
	v_mov_b32_e32 v22, 0xc9b3069f
	v_mov_b32_e32 v23, 0x3ff40e72
	v_fmac_f64_e32 v[22:23], v[12:13], v[26:27]
	v_mov_b32_e32 v26, 0xe68162bb
	;; [unrolled: 3-line block ×4, first 2 shown]
	v_mov_b32_e32 v27, 0x40153965
	v_fmac_f64_e32 v[26:27], v[12:13], v[22:23]
	v_fma_f64 v[22:23], v[12:13], v[26:27], 1.0
	v_mov_b32_e32 v26, 0x38a5384a
	v_mov_b32_e32 v27, 0xbf874742
	v_fmac_f64_e32 v[26:27], 0, v[12:13]
	v_mov_b32_e32 v30, 0x3a321174
	v_mov_b32_e32 v31, 0xbff4853b
	v_fmac_f64_e32 v[30:31], v[12:13], v[26:27]
	;; [unrolled: 3-line block ×9, first 2 shown]
	v_fmac_f64_e32 v[32:33], v[12:13], v[26:27]
	v_mov_b32_e32 v26, 0xbd748cb5
	v_mov_b32_e32 v27, 0x40ae54cd
	v_fmac_f64_e32 v[26:27], v[12:13], v[32:33]
	v_mov_b32_e32 v32, 0xbdefd63e
	v_mov_b32_e32 v33, 0x40bc4877
	;; [unrolled: 3-line block ×4, first 2 shown]
	v_fma_f64 v[24:25], v[12:13], v[24:25], 1.0
	v_fmac_f64_e32 v[32:33], v[12:13], v[26:27]
	v_div_scale_f64 v[26:27], s[4:5], v[22:23], v[22:23], v[24:25]
	v_rcp_f64_e32 v[34:35], v[26:27]
	v_mov_b32_e32 v37, 0x406e402f
	v_fmac_f64_e32 v[36:37], v[12:13], v[32:33]
	s_mov_b32 s4, 0x9037ab78
	v_fma_f64 v[12:13], -v[26:27], v[34:35], 1.0
	v_fmac_f64_e32 v[34:35], v[34:35], v[12:13]
	v_fma_f64 v[12:13], -v[26:27], v[34:35], 1.0
	v_fmac_f64_e32 v[34:35], v[34:35], v[12:13]
	v_div_scale_f64 v[12:13], vcc, v[24:25], v[22:23], v[24:25]
	v_mul_f64 v[32:33], v[12:13], v[34:35]
	v_fma_f64 v[12:13], -v[26:27], v[32:33], v[12:13]
	s_mov_b32 s5, 0x3e21eeb6
	s_nop 0
	v_div_fmas_f64 v[12:13], v[12:13], v[34:35], v[32:33]
	s_mov_b32 s12, 0x46cc5e42
	v_div_fixup_f64 v[12:13], v[12:13], v[22:23], v[24:25]
	v_mul_f64 v[22:23], v[14:15], v[14:15]
	s_mov_b32 s13, 0xbda907db
	v_pk_mov_b32 v[34:35], s[4:5], s[4:5] op_sel:[0,1]
	s_mov_b32 s14, 0xa17f65f6
	v_mul_f64 v[24:25], v[22:23], 0.5
	v_fma_f64 v[38:39], s[12:13], v[22:23], v[34:35]
	s_mov_b32 s15, 0xbe927e4f
	s_mov_b32 s20, 0x19f4ec90
	v_add_f64 v[26:27], -v[24:25], 1.0
	v_fma_f64 v[38:39], v[22:23], v[38:39], s[14:15]
	s_mov_b32 s21, 0x3efa01a0
	s_mov_b32 s22, 0x16c16967
	v_add_f64 v[32:33], -v[26:27], 1.0
	v_fma_f64 v[38:39], v[22:23], v[38:39], s[20:21]
	s_mov_b32 s23, 0xbf56c16c
	s_mov_b32 s24, 0x55555555
	v_add_f64 v[24:25], v[32:33], -v[24:25]
	v_fma_f64 v[38:39], v[22:23], v[38:39], s[22:23]
	s_mov_b32 s25, 0x3fa55555
	v_mul_f64 v[32:33], v[22:23], v[22:23]
	v_fma_f64 v[38:39], v[22:23], v[38:39], s[24:25]
	v_fma_f64 v[24:25], v[14:15], -v[16:17], v[24:25]
	s_mov_b32 s4, 0xb42fdfa7
	v_fmac_f64_e32 v[24:25], v[32:33], v[38:39]
	s_mov_b32 s5, 0xbe5ae600
	s_mov_b32 s26, 0xf9a43bb8
	v_add_f64 v[24:25], v[26:27], v[24:25]
	s_mov_b32 s27, 0x3de5e0b2
	v_pk_mov_b32 v[26:27], s[4:5], s[4:5] op_sel:[0,1]
	s_mov_b32 s28, 0x796cde01
	v_fma_f64 v[32:33], s[26:27], v[22:23], v[26:27]
	s_mov_b32 s29, 0x3ec71de3
	s_mov_b32 s30, 0x19e83e5c
	v_fma_f64 v[32:33], v[22:23], v[32:33], s[28:29]
	s_mov_b32 s31, 0xbf2a01a0
	;; [unrolled: 3-line block ×3, first 2 shown]
	v_fma_f64 v[32:33], v[22:23], v[32:33], s[34:35]
	v_mul_f64 v[38:39], v[14:15], -v[22:23]
	v_mul_f64 v[40:41], v[16:17], 0.5
	v_fmac_f64_e32 v[40:41], v[38:39], v[32:33]
	v_fma_f64 v[16:17], v[22:23], v[40:41], -v[16:17]
	s_mov_b32 s37, 0xbfc55555
	s_mov_b32 s36, s24
	v_fmac_f64_e32 v[16:17], s[36:37], v[38:39]
	v_add_f64 v[14:15], v[14:15], -v[16:17]
	v_and_b32_e32 v16, 1, v28
	v_xor_b32_e32 v15, 0x80000000, v15
	v_cmp_eq_u32_e32 vcc, 0, v16
	v_cndmask_b32_e32 v22, v14, v24, vcc
	v_cndmask_b32_e32 v14, v15, v25, vcc
	v_lshlrev_b32_e32 v15, 30, v28
	s_mov_b32 s38, 0
	v_and_b32_e32 v15, 0x80000000, v15
	s_mov_b32 s39, 0xc0140000
	v_xor_b32_e32 v23, v14, v15
	v_div_scale_f64 v[14:15], s[4:5], v[8:9], v[8:9], s[38:39]
	v_rcp_f64_e32 v[16:17], v[14:15]
	s_movk_i32 s33, 0x1f8
	v_cmp_class_f64_e64 s[4:5], v[6:7], s33
	v_and_b32_e32 v6, 1, v29
	v_fma_f64 v[24:25], -v[14:15], v[16:17], 1.0
	v_fmac_f64_e32 v[16:17], v[16:17], v[24:25]
	v_fma_f64 v[24:25], -v[14:15], v[16:17], 1.0
	v_fmac_f64_e32 v[16:17], v[16:17], v[24:25]
	v_div_scale_f64 v[24:25], vcc, s[38:39], v[8:9], s[38:39]
	v_mul_f64 v[32:33], v[24:25], v[16:17]
	v_fma_f64 v[14:15], -v[14:15], v[32:33], v[24:25]
	v_div_scale_f64 v[24:25], s[40:41], v[36:37], v[36:37], v[30:31]
	v_rcp_f64_e32 v[38:39], v[24:25]
	v_div_fmas_f64 v[14:15], v[14:15], v[16:17], v[32:33]
	v_div_fixup_f64 v[14:15], v[14:15], v[8:9], s[38:39]
	v_mov_b32_e32 v28, 0x7ff80000
	v_fma_f64 v[16:17], -v[24:25], v[38:39], 1.0
	v_fmac_f64_e32 v[38:39], v[38:39], v[16:17]
	v_fma_f64 v[16:17], -v[24:25], v[38:39], 1.0
	v_fmac_f64_e32 v[38:39], v[38:39], v[16:17]
	v_div_scale_f64 v[16:17], vcc, v[30:31], v[36:37], v[30:31]
	v_mul_f64 v[32:33], v[16:17], v[38:39]
	v_fma_f64 v[16:17], -v[24:25], v[32:33], v[16:17]
	v_cndmask_b32_e64 v22, 0, v22, s[4:5]
	s_nop 0
	v_div_fmas_f64 v[16:17], v[16:17], v[38:39], v[32:33]
	v_div_fixup_f64 v[16:17], v[16:17], v[36:37], v[30:31]
	v_mul_f64 v[14:15], v[14:15], v[16:17]
	v_mul_f64 v[16:17], v[18:19], v[18:19]
	v_mul_f64 v[24:25], v[16:17], 0.5
	v_fmac_f64_e32 v[34:35], s[12:13], v[16:17]
	v_add_f64 v[30:31], -v[24:25], 1.0
	v_fma_f64 v[34:35], v[16:17], v[34:35], s[14:15]
	v_add_f64 v[32:33], -v[30:31], 1.0
	v_fma_f64 v[34:35], v[16:17], v[34:35], s[20:21]
	v_add_f64 v[24:25], v[32:33], -v[24:25]
	v_fma_f64 v[34:35], v[16:17], v[34:35], s[22:23]
	v_fmac_f64_e32 v[26:27], s[26:27], v[16:17]
	v_mul_f64 v[32:33], v[16:17], v[16:17]
	v_fma_f64 v[34:35], v[16:17], v[34:35], s[24:25]
	v_fma_f64 v[24:25], v[18:19], -v[20:21], v[24:25]
	v_fma_f64 v[26:27], v[16:17], v[26:27], s[28:29]
	v_fmac_f64_e32 v[24:25], v[32:33], v[34:35]
	v_fma_f64 v[26:27], v[16:17], v[26:27], s[30:31]
	v_add_f64 v[24:25], v[30:31], v[24:25]
	v_fma_f64 v[26:27], v[16:17], v[26:27], s[34:35]
	v_mul_f64 v[30:31], v[18:19], -v[16:17]
	v_mul_f64 v[32:33], v[20:21], 0.5
	v_fmac_f64_e32 v[32:33], v[30:31], v[26:27]
	v_fma_f64 v[16:17], v[16:17], v[32:33], -v[20:21]
	v_fmac_f64_e32 v[16:17], s[36:37], v[30:31]
	v_add_f64 v[16:17], v[18:19], -v[16:17]
	v_cmp_eq_u32_e32 vcc, 0, v6
	v_cndmask_b32_e32 v6, v24, v16, vcc
	v_cndmask_b32_e32 v16, v25, v17, vcc
	v_lshlrev_b32_e32 v17, 30, v29
	v_xor_b32_e32 v7, v17, v7
	v_and_b32_e32 v7, 0x80000000, v7
	v_xor_b32_e32 v7, v16, v7
	v_cndmask_b32_e64 v23, v28, v23, s[4:5]
	v_cndmask_b32_e64 v6, 0, v6, s[4:5]
	v_cndmask_b32_e64 v7, v28, v7, s[4:5]
	s_mov_b32 s4, 0
	s_brev_b32 s5, 8
	v_mul_f64 v[6:7], v[14:15], v[6:7]
	v_cmp_gt_f64_e32 vcc, s[4:5], v[8:9]
	v_fmac_f64_e32 v[6:7], v[12:13], v[22:23]
	v_cndmask_b32_e64 v12, 0, 1, vcc
	v_lshlrev_b32_e32 v12, 8, v12
	v_ldexp_f64 v[8:9], v[8:9], v12
	v_rsq_f64_e32 v[12:13], v[8:9]
	s_mov_b32 s4, 0x33d43651
	s_mov_b32 s5, 0x3fe98845
	v_mul_f64 v[6:7], v[6:7], s[4:5]
	v_mul_f64 v[14:15], v[8:9], v[12:13]
	v_mul_f64 v[12:13], v[12:13], 0.5
	v_fma_f64 v[16:17], -v[12:13], v[14:15], 0.5
	v_fmac_f64_e32 v[14:15], v[14:15], v[16:17]
	v_fma_f64 v[18:19], -v[14:15], v[14:15], v[8:9]
	v_fmac_f64_e32 v[12:13], v[12:13], v[16:17]
	v_fmac_f64_e32 v[14:15], v[18:19], v[12:13]
	v_fma_f64 v[16:17], -v[14:15], v[14:15], v[8:9]
	v_fmac_f64_e32 v[14:15], v[16:17], v[12:13]
	v_mov_b32_e32 v12, 0xffffff80
	v_cndmask_b32_e32 v12, 0, v12, vcc
	v_ldexp_f64 v[12:13], v[14:15], v12
	v_mov_b32_e32 v14, 0x260
	v_cmp_class_f64_e32 vcc, v[8:9], v14
	v_cndmask_b32_e32 v9, v13, v9, vcc
	v_cndmask_b32_e32 v8, v12, v8, vcc
	v_div_scale_f64 v[12:13], s[4:5], v[8:9], v[8:9], v[6:7]
	v_rcp_f64_e32 v[14:15], v[12:13]
	v_fma_f64 v[16:17], -v[12:13], v[14:15], 1.0
	v_fmac_f64_e32 v[14:15], v[14:15], v[16:17]
	v_fma_f64 v[16:17], -v[12:13], v[14:15], 1.0
	v_fmac_f64_e32 v[14:15], v[14:15], v[16:17]
	v_div_scale_f64 v[16:17], vcc, v[6:7], v[8:9], v[6:7]
	v_mul_f64 v[18:19], v[16:17], v[14:15]
	v_fma_f64 v[12:13], -v[12:13], v[18:19], v[16:17]
	s_nop 1
	v_div_fmas_f64 v[12:13], v[12:13], v[14:15], v[18:19]
	v_div_fixup_f64 v[6:7], v[12:13], v[8:9], v[6:7]
.LBB5_19:
	s_or_b64 exec, exec, s[10:11]
	v_xor_b32_e32 v8, 0x80000000, v11
	v_cmp_gt_f64_e32 vcc, 0, v[10:11]
	s_mov_b32 s4, 0
	v_cndmask_b32_e32 v11, v11, v8, vcc
	s_mov_b32 s5, 0x40140000
	v_cmp_ge_f64_e32 vcc, s[4:5], v[10:11]
	v_mul_f64 v[12:13], v[10:11], v[10:11]
	s_and_saveexec_b64 s[4:5], vcc
	s_xor_b64 s[4:5], exec, s[4:5]
	s_cbranch_execz .LBB5_25
; %bb.20:
	s_mov_b32 s10, 0x88e368f1
	s_mov_b32 s11, 0x3ee4f8b5
	v_cmp_ngt_f64_e32 vcc, s[10:11], v[10:11]
	s_and_saveexec_b64 s[10:11], vcc
	s_xor_b64 s[10:11], exec, s[10:11]
	s_cbranch_execz .LBB5_22
; %bb.21:
	v_mov_b32_e32 v8, 0xad1c8325
	v_mov_b32_e32 v9, 0xc1f1dc53
	v_fmac_f64_e32 v[8:9], 0, v[12:13]
	v_mov_b32_e32 v10, 0xc772990d
	v_mov_b32_e32 v11, 0x427c7751
	v_fmac_f64_e32 v[10:11], v[12:13], v[8:9]
	;; [unrolled: 3-line block ×10, first 2 shown]
	v_mov_b32_e32 v14, 0xc7b662cc
	v_mov_b32_e32 v15, 0x43b7be34
	s_mov_b32 s12, 0x80462bbb
	v_fmac_f64_e32 v[14:15], v[12:13], v[10:11]
	v_mov_b32_e32 v10, 0x69ff5fb4
	v_mov_b32_e32 v11, 0x43413ef8
	s_mov_b32 s13, 0xc01721fb
	v_fmac_f64_e32 v[10:11], v[12:13], v[8:9]
	v_add_f64 v[8:9], v[12:13], s[12:13]
	s_mov_b32 s12, 0xa621dd6f
	s_mov_b32 s13, 0xc03e78a4
	v_add_f64 v[12:13], v[12:13], s[12:13]
	v_mul_f64 v[8:9], v[8:9], v[12:13]
	v_mul_f64 v[8:9], v[8:9], v[10:11]
	v_div_scale_f64 v[10:11], s[12:13], v[14:15], v[14:15], v[8:9]
	v_rcp_f64_e32 v[12:13], v[10:11]
	v_fma_f64 v[16:17], -v[10:11], v[12:13], 1.0
	v_fmac_f64_e32 v[12:13], v[12:13], v[16:17]
	v_fma_f64 v[16:17], -v[10:11], v[12:13], 1.0
	v_fmac_f64_e32 v[12:13], v[12:13], v[16:17]
	v_div_scale_f64 v[16:17], vcc, v[8:9], v[14:15], v[8:9]
	v_mul_f64 v[18:19], v[16:17], v[12:13]
	v_fma_f64 v[10:11], -v[10:11], v[18:19], v[16:17]
	s_nop 1
	v_div_fmas_f64 v[10:11], v[10:11], v[12:13], v[18:19]
	v_div_fixup_f64 v[8:9], v[10:11], v[14:15], v[8:9]
                                        ; implicit-def: $vgpr12_vgpr13
.LBB5_22:
	s_andn2_saveexec_b64 s[10:11], s[10:11]
; %bb.23:
	s_mov_b32 s12, 0
	s_mov_b32 s13, 0xbfd00000
	v_fma_f64 v[8:9], v[12:13], s[12:13], 1.0
; %bb.24:
	s_or_b64 exec, exec, s[10:11]
                                        ; implicit-def: $vgpr12_vgpr13
                                        ; implicit-def: $vgpr10_vgpr11
.LBB5_25:
	s_andn2_saveexec_b64 s[10:11], s[4:5]
	s_cbranch_execz .LBB5_35
; %bb.26:
	s_mov_b32 s15, 0xbfe921fb
	s_mov_b32 s14, 0x54442d18
	;; [unrolled: 1-line block ×3, first 2 shown]
	v_add_f64 v[8:9], v[10:11], s[14:15]
	s_mov_b32 s5, 0x41d00000
	v_cmp_nlt_f64_e64 s[12:13], |v[8:9]|, s[4:5]
	v_trig_preop_f64 v[26:27], |v[8:9]|, 0
	v_trig_preop_f64 v[24:25], |v[8:9]|, 1
	;; [unrolled: 1-line block ×3, first 2 shown]
                                        ; implicit-def: $vgpr28
                                        ; implicit-def: $vgpr14_vgpr15
                                        ; implicit-def: $vgpr16_vgpr17
	s_and_saveexec_b64 s[4:5], s[12:13]
	s_xor_b64 s[20:21], exec, s[4:5]
	s_cbranch_execz .LBB5_28
; %bb.27:
	s_mov_b32 s4, 0
	s_mov_b32 s5, 0x7b000000
	s_movk_i32 s15, 0xff80
	v_and_b32_e32 v16, 0x7fffffff, v9
	v_ldexp_f64 v[14:15], |v[8:9]|, s15
	v_cmp_ge_f64_e64 vcc, |v[8:9]|, s[4:5]
	v_cndmask_b32_e32 v15, v16, v15, vcc
	v_cndmask_b32_e32 v14, v8, v14, vcc
	v_mul_f64 v[18:19], v[26:27], v[14:15]
	v_mul_f64 v[16:17], v[24:25], v[14:15]
	v_fma_f64 v[20:21], v[26:27], v[14:15], -v[18:19]
	v_add_f64 v[28:29], v[16:17], v[20:21]
	v_add_f64 v[30:31], v[18:19], v[28:29]
	s_mov_b32 s4, 0
	v_ldexp_f64 v[32:33], v[30:31], -2
	s_mov_b32 s5, 0x7ff00000
	v_fract_f64_e32 v[34:35], v[32:33]
	v_cmp_neq_f64_e64 vcc, |v[32:33]|, s[4:5]
	v_cndmask_b32_e32 v33, 0, v35, vcc
	v_cndmask_b32_e32 v32, 0, v34, vcc
	v_add_f64 v[34:35], v[28:29], -v[16:17]
	v_add_f64 v[20:21], v[20:21], -v[34:35]
	;; [unrolled: 1-line block ×4, first 2 shown]
	v_add_f64 v[20:21], v[20:21], v[34:35]
	v_fma_f64 v[16:17], v[24:25], v[14:15], -v[16:17]
	v_mul_f64 v[34:35], v[22:23], v[14:15]
	v_add_f64 v[38:39], v[34:35], v[16:17]
	v_add_f64 v[40:41], v[38:39], v[20:21]
	v_add_f64 v[18:19], v[30:31], -v[18:19]
	v_add_f64 v[30:31], v[40:41], -v[38:39]
	;; [unrolled: 1-line block ×5, first 2 shown]
	v_add_f64 v[20:21], v[20:21], v[30:31]
	v_add_f64 v[30:31], v[38:39], -v[34:35]
	v_add_f64 v[16:17], v[16:17], -v[30:31]
	;; [unrolled: 1-line block ×5, first 2 shown]
	v_add_f64 v[28:29], v[18:19], v[40:41]
	v_add_f64 v[16:17], v[16:17], v[30:31]
	v_add_f64 v[18:19], v[28:29], -v[18:19]
	v_add_f64 v[16:17], v[16:17], v[20:21]
	v_fma_f64 v[14:15], v[22:23], v[14:15], -v[34:35]
	v_add_f64 v[18:19], v[40:41], -v[18:19]
	v_add_f64 v[14:15], v[14:15], v[16:17]
	v_ldexp_f64 v[16:17], v[32:33], 2
	v_add_f64 v[14:15], v[18:19], v[14:15]
	v_add_f64 v[18:19], v[28:29], v[16:17]
	v_mov_b32_e32 v20, 0x40100000
	v_cmp_gt_f64_e32 vcc, 0, v[18:19]
	v_mov_b32_e32 v36, 0
	v_cndmask_b32_e32 v37, 0, v20, vcc
	v_add_f64 v[16:17], v[16:17], v[36:37]
	v_add_f64 v[18:19], v[28:29], v[16:17]
	v_cvt_i32_f64_e32 v20, v[18:19]
	v_cvt_f64_i32_e32 v[18:19], v20
	v_add_f64 v[16:17], v[16:17], -v[18:19]
	v_add_f64 v[18:19], v[28:29], v[16:17]
	v_add_f64 v[16:17], v[18:19], -v[16:17]
	v_add_f64 v[16:17], v[28:29], -v[16:17]
	v_add_f64 v[14:15], v[14:15], v[16:17]
	v_cmp_le_f64_e32 vcc, 0.5, v[18:19]
	v_mov_b32_e32 v16, 0x3ff00000
	v_cndmask_b32_e32 v37, 0, v16, vcc
	v_add_f64 v[16:17], v[18:19], -v[36:37]
	v_add_f64 v[18:19], v[16:17], v[14:15]
	v_addc_co_u32_e64 v28, s[4:5], 0, v20, vcc
	v_add_f64 v[16:17], v[18:19], -v[16:17]
	s_mov_b32 s15, 0x3ff921fb
	v_add_f64 v[14:15], v[14:15], -v[16:17]
	v_mul_f64 v[16:17], v[18:19], s[14:15]
	s_mov_b32 s4, 0x33145c07
	v_fma_f64 v[20:21], v[18:19], s[14:15], -v[16:17]
	s_mov_b32 s5, 0x3c91a626
	v_fmac_f64_e32 v[20:21], s[4:5], v[18:19]
	v_fmac_f64_e32 v[20:21], s[14:15], v[14:15]
	v_add_f64 v[14:15], v[16:17], v[20:21]
	v_add_f64 v[16:17], v[14:15], -v[16:17]
	v_add_f64 v[16:17], v[20:21], -v[16:17]
	s_andn2_saveexec_b64 s[4:5], s[20:21]
	s_cbranch_execz .LBB5_30
	s_branch .LBB5_29
.LBB5_28:
	s_andn2_saveexec_b64 s[4:5], s[20:21]
	s_cbranch_execz .LBB5_30
.LBB5_29:
	s_mov_b32 s14, 0x6dc9c883
	s_mov_b32 s15, 0x3fe45f30
	v_mul_f64 v[14:15], |v[8:9]|, s[14:15]
	s_mov_b32 s14, 0x54442d18
	v_rndne_f64_e32 v[18:19], v[14:15]
	s_mov_b32 s15, 0xbff921fb
	v_fma_f64 v[14:15], v[18:19], s[14:15], |v[8:9]|
	s_mov_b32 s15, 0xbc91a626
	s_mov_b32 s14, 0x33145c00
	v_mul_f64 v[20:21], v[18:19], s[14:15]
	v_add_f64 v[30:31], v[14:15], v[20:21]
	v_fma_f64 v[16:17], s[14:15], v[18:19], v[14:15]
	s_mov_b32 s15, 0x3c91a626
	v_add_f64 v[14:15], v[14:15], -v[30:31]
	v_fma_f64 v[28:29], s[14:15], v[18:19], v[20:21]
	v_add_f64 v[14:15], v[14:15], v[20:21]
	v_add_f64 v[20:21], v[30:31], -v[16:17]
	v_add_f64 v[14:15], v[20:21], v[14:15]
	s_mov_b32 s14, 0x252049c0
	v_add_f64 v[20:21], v[14:15], -v[28:29]
	s_mov_b32 s15, 0xb97b839a
	v_fmac_f64_e32 v[20:21], s[14:15], v[18:19]
	v_add_f64 v[14:15], v[16:17], v[20:21]
	v_add_f64 v[16:17], v[14:15], -v[16:17]
	v_add_f64 v[16:17], v[20:21], -v[16:17]
	v_cvt_i32_f64_e32 v28, v[18:19]
.LBB5_30:
	s_or_b64 exec, exec, s[4:5]
                                        ; implicit-def: $vgpr29
                                        ; implicit-def: $vgpr18_vgpr19
                                        ; implicit-def: $vgpr20_vgpr21
	s_and_saveexec_b64 s[4:5], s[12:13]
	s_xor_b64 s[12:13], exec, s[4:5]
	s_cbranch_execz .LBB5_32
; %bb.31:
	s_mov_b32 s4, 0
	s_mov_b32 s5, 0x7b000000
	s_movk_i32 s14, 0xff80
	v_and_b32_e32 v20, 0x7fffffff, v9
	v_ldexp_f64 v[18:19], |v[8:9]|, s14
	v_cmp_ge_f64_e64 vcc, |v[8:9]|, s[4:5]
	v_cndmask_b32_e32 v19, v20, v19, vcc
	v_cndmask_b32_e32 v18, v8, v18, vcc
	v_mul_f64 v[30:31], v[26:27], v[18:19]
	v_mul_f64 v[20:21], v[24:25], v[18:19]
	v_fma_f64 v[26:27], v[26:27], v[18:19], -v[30:31]
	v_add_f64 v[32:33], v[20:21], v[26:27]
	v_add_f64 v[34:35], v[30:31], v[32:33]
	s_mov_b32 s4, 0
	v_ldexp_f64 v[36:37], v[34:35], -2
	s_mov_b32 s5, 0x7ff00000
	v_fract_f64_e32 v[38:39], v[36:37]
	v_cmp_neq_f64_e64 vcc, |v[36:37]|, s[4:5]
	v_cndmask_b32_e32 v37, 0, v39, vcc
	v_cndmask_b32_e32 v36, 0, v38, vcc
	v_add_f64 v[38:39], v[32:33], -v[20:21]
	v_add_f64 v[26:27], v[26:27], -v[38:39]
	;; [unrolled: 1-line block ×4, first 2 shown]
	v_fma_f64 v[20:21], v[24:25], v[18:19], -v[20:21]
	v_mul_f64 v[24:25], v[22:23], v[18:19]
	v_add_f64 v[26:27], v[26:27], v[38:39]
	v_add_f64 v[38:39], v[24:25], v[20:21]
	;; [unrolled: 1-line block ×3, first 2 shown]
	v_add_f64 v[30:31], v[34:35], -v[30:31]
	v_add_f64 v[34:35], v[42:43], -v[38:39]
	;; [unrolled: 1-line block ×5, first 2 shown]
	v_add_f64 v[26:27], v[26:27], v[34:35]
	v_add_f64 v[34:35], v[38:39], -v[24:25]
	v_add_f64 v[20:21], v[20:21], -v[34:35]
	;; [unrolled: 1-line block ×4, first 2 shown]
	v_add_f64 v[20:21], v[20:21], v[34:35]
	v_add_f64 v[30:31], v[32:33], -v[30:31]
	v_add_f64 v[20:21], v[20:21], v[26:27]
	v_fma_f64 v[18:19], v[22:23], v[18:19], -v[24:25]
	v_add_f64 v[32:33], v[30:31], v[42:43]
	v_add_f64 v[18:19], v[18:19], v[20:21]
	v_ldexp_f64 v[20:21], v[36:37], 2
	v_add_f64 v[22:23], v[32:33], v[20:21]
	v_mov_b32_e32 v24, 0x40100000
	v_cmp_gt_f64_e32 vcc, 0, v[22:23]
	v_mov_b32_e32 v40, 0
	v_cndmask_b32_e32 v41, 0, v24, vcc
	v_add_f64 v[20:21], v[20:21], v[40:41]
	v_add_f64 v[22:23], v[32:33], v[20:21]
	v_cvt_i32_f64_e32 v24, v[22:23]
	v_cvt_f64_i32_e32 v[22:23], v24
	v_add_f64 v[20:21], v[20:21], -v[22:23]
	v_add_f64 v[30:31], v[32:33], -v[30:31]
	v_add_f64 v[22:23], v[32:33], v[20:21]
	v_add_f64 v[30:31], v[42:43], -v[30:31]
	v_add_f64 v[20:21], v[22:23], -v[20:21]
	v_add_f64 v[18:19], v[30:31], v[18:19]
	v_add_f64 v[20:21], v[32:33], -v[20:21]
	v_add_f64 v[18:19], v[18:19], v[20:21]
	v_cmp_le_f64_e32 vcc, 0.5, v[22:23]
	v_mov_b32_e32 v20, 0x3ff00000
	v_cndmask_b32_e32 v41, 0, v20, vcc
	v_addc_co_u32_e64 v29, s[4:5], 0, v24, vcc
	v_add_f64 v[20:21], v[22:23], -v[40:41]
	v_add_f64 v[22:23], v[20:21], v[18:19]
	s_mov_b32 s4, 0x54442d18
	v_add_f64 v[20:21], v[22:23], -v[20:21]
	s_mov_b32 s5, 0x3ff921fb
	v_add_f64 v[18:19], v[18:19], -v[20:21]
	v_mul_f64 v[20:21], v[22:23], s[4:5]
	s_mov_b32 s14, 0x33145c07
	v_fma_f64 v[24:25], v[22:23], s[4:5], -v[20:21]
	s_mov_b32 s15, 0x3c91a626
	v_fmac_f64_e32 v[24:25], s[14:15], v[22:23]
	v_fmac_f64_e32 v[24:25], s[4:5], v[18:19]
	v_add_f64 v[18:19], v[20:21], v[24:25]
	v_add_f64 v[20:21], v[18:19], -v[20:21]
	v_add_f64 v[20:21], v[24:25], -v[20:21]
	s_andn2_saveexec_b64 s[4:5], s[12:13]
	s_cbranch_execnz .LBB5_33
	s_branch .LBB5_34
.LBB5_32:
	s_andn2_saveexec_b64 s[4:5], s[12:13]
	s_cbranch_execz .LBB5_34
.LBB5_33:
	s_mov_b32 s12, 0x6dc9c883
	s_mov_b32 s13, 0x3fe45f30
	v_mul_f64 v[18:19], |v[8:9]|, s[12:13]
	s_mov_b32 s12, 0x54442d18
	v_rndne_f64_e32 v[22:23], v[18:19]
	s_mov_b32 s13, 0xbff921fb
	v_fma_f64 v[18:19], v[22:23], s[12:13], |v[8:9]|
	s_mov_b32 s13, 0xbc91a626
	s_mov_b32 s12, 0x33145c00
	v_mul_f64 v[24:25], v[22:23], s[12:13]
	v_add_f64 v[30:31], v[18:19], v[24:25]
	v_fma_f64 v[20:21], s[12:13], v[22:23], v[18:19]
	s_mov_b32 s13, 0x3c91a626
	v_add_f64 v[18:19], v[18:19], -v[30:31]
	v_fma_f64 v[26:27], s[12:13], v[22:23], v[24:25]
	v_add_f64 v[18:19], v[18:19], v[24:25]
	v_add_f64 v[24:25], v[30:31], -v[20:21]
	v_add_f64 v[18:19], v[24:25], v[18:19]
	s_mov_b32 s12, 0x252049c0
	v_add_f64 v[24:25], v[18:19], -v[26:27]
	s_mov_b32 s13, 0xb97b839a
	v_fmac_f64_e32 v[24:25], s[12:13], v[22:23]
	v_add_f64 v[18:19], v[20:21], v[24:25]
	v_add_f64 v[20:21], v[18:19], -v[20:21]
	v_add_f64 v[20:21], v[24:25], -v[20:21]
	v_cvt_i32_f64_e32 v29, v[22:23]
.LBB5_34:
	s_or_b64 exec, exec, s[4:5]
	s_mov_b32 s4, 0
	s_mov_b32 s5, 0x40390000
	v_div_scale_f64 v[22:23], s[12:13], v[12:13], v[12:13], s[4:5]
	v_rcp_f64_e32 v[24:25], v[22:23]
	v_mov_b32_e32 v32, 0xb1759c7f
	v_mov_b32_e32 v33, 0x408ac370
	;; [unrolled: 1-line block ×3, first 2 shown]
	v_fma_f64 v[26:27], -v[22:23], v[24:25], 1.0
	v_fmac_f64_e32 v[24:25], v[24:25], v[26:27]
	v_fma_f64 v[26:27], -v[22:23], v[24:25], 1.0
	v_fmac_f64_e32 v[24:25], v[24:25], v[26:27]
	v_div_scale_f64 v[26:27], vcc, s[4:5], v[12:13], s[4:5]
	v_mul_f64 v[30:31], v[26:27], v[24:25]
	v_fma_f64 v[22:23], -v[22:23], v[30:31], v[26:27]
	v_mov_b32_e32 v26, 0xab5454e3
	s_nop 0
	v_div_fmas_f64 v[22:23], v[22:23], v[24:25], v[30:31]
	v_div_fixup_f64 v[12:13], v[22:23], v[12:13], s[4:5]
	v_mov_b32_e32 v22, 0x983b6b27
	v_mov_b32_e32 v23, 0x3f4a1d30
	v_fmac_f64_e32 v[22:23], 0, v[12:13]
	v_mov_b32_e32 v24, 0xb35dd1cf
	v_mov_b32_e32 v25, 0x3fb534b0
	v_fmac_f64_e32 v[24:25], v[12:13], v[22:23]
	;; [unrolled: 3-line block ×7, first 2 shown]
	v_mov_b32_e32 v27, 0x3fb5ebc5
	v_fmac_f64_e32 v[26:27], v[12:13], v[22:23]
	v_mov_b32_e32 v22, 0xc9b3069f
	v_mov_b32_e32 v23, 0x3ff40e72
	v_fmac_f64_e32 v[22:23], v[12:13], v[26:27]
	v_mov_b32_e32 v26, 0xe68162bb
	;; [unrolled: 3-line block ×4, first 2 shown]
	v_mov_b32_e32 v27, 0x40153965
	v_fmac_f64_e32 v[26:27], v[12:13], v[22:23]
	v_fma_f64 v[22:23], v[12:13], v[26:27], 1.0
	v_mov_b32_e32 v26, 0x38a5384a
	v_mov_b32_e32 v27, 0xbf874742
	v_fmac_f64_e32 v[26:27], 0, v[12:13]
	v_mov_b32_e32 v30, 0x3a321174
	v_mov_b32_e32 v31, 0xbff4853b
	v_fmac_f64_e32 v[30:31], v[12:13], v[26:27]
	;; [unrolled: 3-line block ×9, first 2 shown]
	v_fmac_f64_e32 v[32:33], v[12:13], v[26:27]
	v_mov_b32_e32 v26, 0xbd748cb5
	v_mov_b32_e32 v27, 0x40ae54cd
	v_fmac_f64_e32 v[26:27], v[12:13], v[32:33]
	v_mov_b32_e32 v32, 0xbdefd63e
	v_mov_b32_e32 v33, 0x40bc4877
	;; [unrolled: 3-line block ×4, first 2 shown]
	v_fma_f64 v[24:25], v[12:13], v[24:25], 1.0
	v_fmac_f64_e32 v[32:33], v[12:13], v[26:27]
	v_div_scale_f64 v[26:27], s[4:5], v[22:23], v[22:23], v[24:25]
	v_rcp_f64_e32 v[34:35], v[26:27]
	v_mov_b32_e32 v37, 0x406e402f
	v_fmac_f64_e32 v[36:37], v[12:13], v[32:33]
	s_mov_b32 s4, 0x9037ab78
	v_fma_f64 v[12:13], -v[26:27], v[34:35], 1.0
	v_fmac_f64_e32 v[34:35], v[34:35], v[12:13]
	v_fma_f64 v[12:13], -v[26:27], v[34:35], 1.0
	v_fmac_f64_e32 v[34:35], v[34:35], v[12:13]
	v_div_scale_f64 v[12:13], vcc, v[24:25], v[22:23], v[24:25]
	v_mul_f64 v[32:33], v[12:13], v[34:35]
	v_fma_f64 v[12:13], -v[26:27], v[32:33], v[12:13]
	s_mov_b32 s5, 0x3e21eeb6
	s_nop 0
	v_div_fmas_f64 v[12:13], v[12:13], v[34:35], v[32:33]
	s_mov_b32 s12, 0x46cc5e42
	v_div_fixup_f64 v[12:13], v[12:13], v[22:23], v[24:25]
	v_mul_f64 v[22:23], v[14:15], v[14:15]
	s_mov_b32 s13, 0xbda907db
	v_pk_mov_b32 v[34:35], s[4:5], s[4:5] op_sel:[0,1]
	s_mov_b32 s14, 0xa17f65f6
	v_mul_f64 v[24:25], v[22:23], 0.5
	v_fma_f64 v[38:39], s[12:13], v[22:23], v[34:35]
	s_mov_b32 s15, 0xbe927e4f
	s_mov_b32 s20, 0x19f4ec90
	v_add_f64 v[26:27], -v[24:25], 1.0
	v_fma_f64 v[38:39], v[22:23], v[38:39], s[14:15]
	s_mov_b32 s21, 0x3efa01a0
	s_mov_b32 s22, 0x16c16967
	v_add_f64 v[32:33], -v[26:27], 1.0
	v_fma_f64 v[38:39], v[22:23], v[38:39], s[20:21]
	s_mov_b32 s23, 0xbf56c16c
	s_mov_b32 s24, 0x55555555
	v_add_f64 v[24:25], v[32:33], -v[24:25]
	v_fma_f64 v[38:39], v[22:23], v[38:39], s[22:23]
	s_mov_b32 s25, 0x3fa55555
	v_mul_f64 v[32:33], v[22:23], v[22:23]
	v_fma_f64 v[38:39], v[22:23], v[38:39], s[24:25]
	v_fma_f64 v[24:25], v[14:15], -v[16:17], v[24:25]
	s_mov_b32 s4, 0xb42fdfa7
	v_fmac_f64_e32 v[24:25], v[32:33], v[38:39]
	s_mov_b32 s5, 0xbe5ae600
	s_mov_b32 s26, 0xf9a43bb8
	v_add_f64 v[24:25], v[26:27], v[24:25]
	s_mov_b32 s27, 0x3de5e0b2
	v_pk_mov_b32 v[26:27], s[4:5], s[4:5] op_sel:[0,1]
	s_mov_b32 s28, 0x796cde01
	v_fma_f64 v[32:33], s[26:27], v[22:23], v[26:27]
	s_mov_b32 s29, 0x3ec71de3
	s_mov_b32 s30, 0x19e83e5c
	v_fma_f64 v[32:33], v[22:23], v[32:33], s[28:29]
	s_mov_b32 s31, 0xbf2a01a0
	;; [unrolled: 3-line block ×3, first 2 shown]
	v_fma_f64 v[32:33], v[22:23], v[32:33], s[34:35]
	v_mul_f64 v[38:39], v[14:15], -v[22:23]
	v_mul_f64 v[40:41], v[16:17], 0.5
	v_fmac_f64_e32 v[40:41], v[38:39], v[32:33]
	v_fma_f64 v[16:17], v[22:23], v[40:41], -v[16:17]
	s_mov_b32 s37, 0xbfc55555
	s_mov_b32 s36, s24
	v_fmac_f64_e32 v[16:17], s[36:37], v[38:39]
	v_add_f64 v[14:15], v[14:15], -v[16:17]
	v_and_b32_e32 v16, 1, v28
	v_xor_b32_e32 v15, 0x80000000, v15
	v_cmp_eq_u32_e32 vcc, 0, v16
	v_cndmask_b32_e32 v22, v14, v24, vcc
	v_cndmask_b32_e32 v14, v15, v25, vcc
	v_lshlrev_b32_e32 v15, 30, v28
	s_mov_b32 s38, 0
	v_and_b32_e32 v15, 0x80000000, v15
	s_mov_b32 s39, 0xc0140000
	v_xor_b32_e32 v23, v14, v15
	v_div_scale_f64 v[14:15], s[4:5], v[10:11], v[10:11], s[38:39]
	v_rcp_f64_e32 v[16:17], v[14:15]
	s_movk_i32 s33, 0x1f8
	v_cmp_class_f64_e64 s[4:5], v[8:9], s33
	v_and_b32_e32 v8, 1, v29
	v_fma_f64 v[24:25], -v[14:15], v[16:17], 1.0
	v_fmac_f64_e32 v[16:17], v[16:17], v[24:25]
	v_fma_f64 v[24:25], -v[14:15], v[16:17], 1.0
	v_fmac_f64_e32 v[16:17], v[16:17], v[24:25]
	v_div_scale_f64 v[24:25], vcc, s[38:39], v[10:11], s[38:39]
	v_mul_f64 v[32:33], v[24:25], v[16:17]
	v_fma_f64 v[14:15], -v[14:15], v[32:33], v[24:25]
	v_div_scale_f64 v[24:25], s[40:41], v[36:37], v[36:37], v[30:31]
	v_rcp_f64_e32 v[38:39], v[24:25]
	v_div_fmas_f64 v[14:15], v[14:15], v[16:17], v[32:33]
	v_div_fixup_f64 v[14:15], v[14:15], v[10:11], s[38:39]
	v_mov_b32_e32 v28, 0x7ff80000
	v_fma_f64 v[16:17], -v[24:25], v[38:39], 1.0
	v_fmac_f64_e32 v[38:39], v[38:39], v[16:17]
	v_fma_f64 v[16:17], -v[24:25], v[38:39], 1.0
	v_fmac_f64_e32 v[38:39], v[38:39], v[16:17]
	v_div_scale_f64 v[16:17], vcc, v[30:31], v[36:37], v[30:31]
	v_mul_f64 v[32:33], v[16:17], v[38:39]
	v_fma_f64 v[16:17], -v[24:25], v[32:33], v[16:17]
	v_cndmask_b32_e64 v22, 0, v22, s[4:5]
	s_nop 0
	v_div_fmas_f64 v[16:17], v[16:17], v[38:39], v[32:33]
	v_div_fixup_f64 v[16:17], v[16:17], v[36:37], v[30:31]
	v_mul_f64 v[14:15], v[14:15], v[16:17]
	v_mul_f64 v[16:17], v[18:19], v[18:19]
	v_mul_f64 v[24:25], v[16:17], 0.5
	v_fmac_f64_e32 v[34:35], s[12:13], v[16:17]
	v_add_f64 v[30:31], -v[24:25], 1.0
	v_fma_f64 v[34:35], v[16:17], v[34:35], s[14:15]
	v_add_f64 v[32:33], -v[30:31], 1.0
	v_fma_f64 v[34:35], v[16:17], v[34:35], s[20:21]
	v_add_f64 v[24:25], v[32:33], -v[24:25]
	v_fma_f64 v[34:35], v[16:17], v[34:35], s[22:23]
	v_fmac_f64_e32 v[26:27], s[26:27], v[16:17]
	v_mul_f64 v[32:33], v[16:17], v[16:17]
	v_fma_f64 v[34:35], v[16:17], v[34:35], s[24:25]
	v_fma_f64 v[24:25], v[18:19], -v[20:21], v[24:25]
	v_fma_f64 v[26:27], v[16:17], v[26:27], s[28:29]
	v_fmac_f64_e32 v[24:25], v[32:33], v[34:35]
	v_fma_f64 v[26:27], v[16:17], v[26:27], s[30:31]
	v_add_f64 v[24:25], v[30:31], v[24:25]
	v_fma_f64 v[26:27], v[16:17], v[26:27], s[34:35]
	v_mul_f64 v[30:31], v[18:19], -v[16:17]
	v_mul_f64 v[32:33], v[20:21], 0.5
	v_fmac_f64_e32 v[32:33], v[30:31], v[26:27]
	v_fma_f64 v[16:17], v[16:17], v[32:33], -v[20:21]
	v_fmac_f64_e32 v[16:17], s[36:37], v[30:31]
	v_add_f64 v[16:17], v[18:19], -v[16:17]
	v_cmp_eq_u32_e32 vcc, 0, v8
	v_cndmask_b32_e32 v8, v24, v16, vcc
	v_cndmask_b32_e32 v16, v25, v17, vcc
	v_lshlrev_b32_e32 v17, 30, v29
	v_xor_b32_e32 v9, v17, v9
	v_and_b32_e32 v9, 0x80000000, v9
	v_xor_b32_e32 v9, v16, v9
	v_cndmask_b32_e64 v23, v28, v23, s[4:5]
	v_cndmask_b32_e64 v8, 0, v8, s[4:5]
	;; [unrolled: 1-line block ×3, first 2 shown]
	s_mov_b32 s4, 0
	s_brev_b32 s5, 8
	v_mul_f64 v[8:9], v[14:15], v[8:9]
	v_cmp_gt_f64_e32 vcc, s[4:5], v[10:11]
	v_fmac_f64_e32 v[8:9], v[12:13], v[22:23]
	v_cndmask_b32_e64 v12, 0, 1, vcc
	v_lshlrev_b32_e32 v12, 8, v12
	v_ldexp_f64 v[10:11], v[10:11], v12
	v_rsq_f64_e32 v[12:13], v[10:11]
	s_mov_b32 s4, 0x33d43651
	s_mov_b32 s5, 0x3fe98845
	v_mul_f64 v[8:9], v[8:9], s[4:5]
	v_mul_f64 v[14:15], v[10:11], v[12:13]
	v_mul_f64 v[12:13], v[12:13], 0.5
	v_fma_f64 v[16:17], -v[12:13], v[14:15], 0.5
	v_fmac_f64_e32 v[14:15], v[14:15], v[16:17]
	v_fma_f64 v[18:19], -v[14:15], v[14:15], v[10:11]
	v_fmac_f64_e32 v[12:13], v[12:13], v[16:17]
	v_fmac_f64_e32 v[14:15], v[18:19], v[12:13]
	v_fma_f64 v[16:17], -v[14:15], v[14:15], v[10:11]
	v_fmac_f64_e32 v[14:15], v[16:17], v[12:13]
	v_mov_b32_e32 v12, 0xffffff80
	v_cndmask_b32_e32 v12, 0, v12, vcc
	v_ldexp_f64 v[12:13], v[14:15], v12
	v_mov_b32_e32 v14, 0x260
	v_cmp_class_f64_e32 vcc, v[10:11], v14
	v_cndmask_b32_e32 v11, v13, v11, vcc
	v_cndmask_b32_e32 v10, v12, v10, vcc
	v_div_scale_f64 v[12:13], s[4:5], v[10:11], v[10:11], v[8:9]
	v_rcp_f64_e32 v[14:15], v[12:13]
	v_fma_f64 v[16:17], -v[12:13], v[14:15], 1.0
	v_fmac_f64_e32 v[14:15], v[14:15], v[16:17]
	v_fma_f64 v[16:17], -v[12:13], v[14:15], 1.0
	v_fmac_f64_e32 v[14:15], v[14:15], v[16:17]
	v_div_scale_f64 v[16:17], vcc, v[8:9], v[10:11], v[8:9]
	v_mul_f64 v[18:19], v[16:17], v[14:15]
	v_fma_f64 v[12:13], -v[12:13], v[18:19], v[16:17]
	s_nop 1
	v_div_fmas_f64 v[12:13], v[12:13], v[14:15], v[18:19]
	v_div_fixup_f64 v[8:9], v[12:13], v[10:11], v[8:9]
.LBB5_35:
	s_or_b64 exec, exec, s[10:11]
	s_waitcnt vmcnt(0)
	v_xor_b32_e32 v10, 0x80000000, v3
	v_cmp_gt_f64_e32 vcc, 0, v[2:3]
	s_mov_b32 s4, 0
	v_cndmask_b32_e32 v3, v3, v10, vcc
	s_mov_b32 s5, 0x40140000
	v_cmp_ge_f64_e32 vcc, s[4:5], v[2:3]
	v_mul_f64 v[12:13], v[2:3], v[2:3]
                                        ; implicit-def: $vgpr10_vgpr11
	s_and_saveexec_b64 s[4:5], vcc
	s_xor_b64 s[4:5], exec, s[4:5]
	s_cbranch_execz .LBB5_41
; %bb.36:
	s_mov_b32 s10, 0x88e368f1
	s_mov_b32 s11, 0x3ee4f8b5
	v_cmp_ngt_f64_e32 vcc, s[10:11], v[2:3]
                                        ; implicit-def: $vgpr10_vgpr11
	s_and_saveexec_b64 s[10:11], vcc
	s_xor_b64 s[10:11], exec, s[10:11]
	s_cbranch_execz .LBB5_38
; %bb.37:
	v_mov_b32_e32 v2, 0xad1c8325
	v_mov_b32_e32 v3, 0xc1f1dc53
	v_fmac_f64_e32 v[2:3], 0, v[12:13]
	v_mov_b32_e32 v10, 0xc772990d
	v_mov_b32_e32 v11, 0x427c7751
	v_fmac_f64_e32 v[10:11], v[12:13], v[2:3]
	;; [unrolled: 3-line block ×10, first 2 shown]
	v_mov_b32_e32 v14, 0xc7b662cc
	v_mov_b32_e32 v15, 0x43b7be34
	s_mov_b32 s12, 0x80462bbb
	v_fmac_f64_e32 v[14:15], v[12:13], v[10:11]
	v_mov_b32_e32 v10, 0x69ff5fb4
	v_mov_b32_e32 v11, 0x43413ef8
	s_mov_b32 s13, 0xc01721fb
	v_fmac_f64_e32 v[10:11], v[12:13], v[2:3]
	v_add_f64 v[2:3], v[12:13], s[12:13]
	s_mov_b32 s12, 0xa621dd6f
	s_mov_b32 s13, 0xc03e78a4
	v_add_f64 v[12:13], v[12:13], s[12:13]
	v_mul_f64 v[2:3], v[2:3], v[12:13]
	v_mul_f64 v[2:3], v[2:3], v[10:11]
	v_div_scale_f64 v[10:11], s[12:13], v[14:15], v[14:15], v[2:3]
	v_rcp_f64_e32 v[12:13], v[10:11]
	v_fma_f64 v[16:17], -v[10:11], v[12:13], 1.0
	v_fmac_f64_e32 v[12:13], v[12:13], v[16:17]
	v_fma_f64 v[16:17], -v[10:11], v[12:13], 1.0
	v_fmac_f64_e32 v[12:13], v[12:13], v[16:17]
	v_div_scale_f64 v[16:17], vcc, v[2:3], v[14:15], v[2:3]
	v_mul_f64 v[18:19], v[16:17], v[12:13]
	v_fma_f64 v[10:11], -v[10:11], v[18:19], v[16:17]
	s_nop 1
	v_div_fmas_f64 v[10:11], v[10:11], v[12:13], v[18:19]
	v_div_fixup_f64 v[10:11], v[10:11], v[14:15], v[2:3]
                                        ; implicit-def: $vgpr12_vgpr13
.LBB5_38:
	s_andn2_saveexec_b64 s[10:11], s[10:11]
; %bb.39:
	s_mov_b32 s12, 0
	s_mov_b32 s13, 0xbfd00000
	v_fma_f64 v[10:11], v[12:13], s[12:13], 1.0
; %bb.40:
	s_or_b64 exec, exec, s[10:11]
                                        ; implicit-def: $vgpr12_vgpr13
.LBB5_41:
	s_andn2_saveexec_b64 s[10:11], s[4:5]
	s_cbranch_execz .LBB5_51
; %bb.42:
	s_mov_b32 s15, 0xbfe921fb
	s_mov_b32 s14, 0x54442d18
	;; [unrolled: 1-line block ×3, first 2 shown]
	v_add_f64 v[10:11], v[2:3], s[14:15]
	s_mov_b32 s5, 0x41d00000
	v_cmp_nlt_f64_e64 s[12:13], |v[10:11]|, s[4:5]
	v_trig_preop_f64 v[26:27], |v[10:11]|, 0
	v_trig_preop_f64 v[24:25], |v[10:11]|, 1
	;; [unrolled: 1-line block ×3, first 2 shown]
                                        ; implicit-def: $vgpr28
                                        ; implicit-def: $vgpr14_vgpr15
                                        ; implicit-def: $vgpr16_vgpr17
	s_and_saveexec_b64 s[4:5], s[12:13]
	s_xor_b64 s[20:21], exec, s[4:5]
	s_cbranch_execz .LBB5_44
; %bb.43:
	s_mov_b32 s4, 0
	s_mov_b32 s5, 0x7b000000
	s_movk_i32 s15, 0xff80
	v_and_b32_e32 v16, 0x7fffffff, v11
	v_ldexp_f64 v[14:15], |v[10:11]|, s15
	v_cmp_ge_f64_e64 vcc, |v[10:11]|, s[4:5]
	v_cndmask_b32_e32 v15, v16, v15, vcc
	v_cndmask_b32_e32 v14, v10, v14, vcc
	v_mul_f64 v[18:19], v[26:27], v[14:15]
	v_mul_f64 v[16:17], v[24:25], v[14:15]
	v_fma_f64 v[20:21], v[26:27], v[14:15], -v[18:19]
	v_add_f64 v[28:29], v[16:17], v[20:21]
	v_add_f64 v[30:31], v[18:19], v[28:29]
	s_mov_b32 s4, 0
	v_ldexp_f64 v[32:33], v[30:31], -2
	s_mov_b32 s5, 0x7ff00000
	v_fract_f64_e32 v[34:35], v[32:33]
	v_cmp_neq_f64_e64 vcc, |v[32:33]|, s[4:5]
	v_cndmask_b32_e32 v33, 0, v35, vcc
	v_cndmask_b32_e32 v32, 0, v34, vcc
	v_add_f64 v[34:35], v[28:29], -v[16:17]
	v_add_f64 v[20:21], v[20:21], -v[34:35]
	;; [unrolled: 1-line block ×4, first 2 shown]
	v_add_f64 v[20:21], v[20:21], v[34:35]
	v_fma_f64 v[16:17], v[24:25], v[14:15], -v[16:17]
	v_mul_f64 v[34:35], v[22:23], v[14:15]
	v_add_f64 v[38:39], v[34:35], v[16:17]
	v_add_f64 v[40:41], v[38:39], v[20:21]
	v_add_f64 v[18:19], v[30:31], -v[18:19]
	v_add_f64 v[30:31], v[40:41], -v[38:39]
	;; [unrolled: 1-line block ×5, first 2 shown]
	v_add_f64 v[20:21], v[20:21], v[30:31]
	v_add_f64 v[30:31], v[38:39], -v[34:35]
	v_add_f64 v[16:17], v[16:17], -v[30:31]
	;; [unrolled: 1-line block ×5, first 2 shown]
	v_add_f64 v[28:29], v[18:19], v[40:41]
	v_add_f64 v[16:17], v[16:17], v[30:31]
	v_add_f64 v[18:19], v[28:29], -v[18:19]
	v_add_f64 v[16:17], v[16:17], v[20:21]
	v_fma_f64 v[14:15], v[22:23], v[14:15], -v[34:35]
	v_add_f64 v[18:19], v[40:41], -v[18:19]
	v_add_f64 v[14:15], v[14:15], v[16:17]
	v_ldexp_f64 v[16:17], v[32:33], 2
	v_add_f64 v[14:15], v[18:19], v[14:15]
	v_add_f64 v[18:19], v[28:29], v[16:17]
	v_mov_b32_e32 v20, 0x40100000
	v_cmp_gt_f64_e32 vcc, 0, v[18:19]
	v_mov_b32_e32 v36, 0
	v_cndmask_b32_e32 v37, 0, v20, vcc
	v_add_f64 v[16:17], v[16:17], v[36:37]
	v_add_f64 v[18:19], v[28:29], v[16:17]
	v_cvt_i32_f64_e32 v20, v[18:19]
	v_cvt_f64_i32_e32 v[18:19], v20
	v_add_f64 v[16:17], v[16:17], -v[18:19]
	v_add_f64 v[18:19], v[28:29], v[16:17]
	v_add_f64 v[16:17], v[18:19], -v[16:17]
	v_add_f64 v[16:17], v[28:29], -v[16:17]
	v_add_f64 v[14:15], v[14:15], v[16:17]
	v_cmp_le_f64_e32 vcc, 0.5, v[18:19]
	v_mov_b32_e32 v16, 0x3ff00000
	v_cndmask_b32_e32 v37, 0, v16, vcc
	v_add_f64 v[16:17], v[18:19], -v[36:37]
	v_add_f64 v[18:19], v[16:17], v[14:15]
	v_addc_co_u32_e64 v28, s[4:5], 0, v20, vcc
	v_add_f64 v[16:17], v[18:19], -v[16:17]
	s_mov_b32 s15, 0x3ff921fb
	v_add_f64 v[14:15], v[14:15], -v[16:17]
	v_mul_f64 v[16:17], v[18:19], s[14:15]
	s_mov_b32 s4, 0x33145c07
	v_fma_f64 v[20:21], v[18:19], s[14:15], -v[16:17]
	s_mov_b32 s5, 0x3c91a626
	v_fmac_f64_e32 v[20:21], s[4:5], v[18:19]
	v_fmac_f64_e32 v[20:21], s[14:15], v[14:15]
	v_add_f64 v[14:15], v[16:17], v[20:21]
	v_add_f64 v[16:17], v[14:15], -v[16:17]
	v_add_f64 v[16:17], v[20:21], -v[16:17]
	s_andn2_saveexec_b64 s[4:5], s[20:21]
	s_cbranch_execz .LBB5_46
	s_branch .LBB5_45
.LBB5_44:
	s_andn2_saveexec_b64 s[4:5], s[20:21]
	s_cbranch_execz .LBB5_46
.LBB5_45:
	s_mov_b32 s14, 0x6dc9c883
	s_mov_b32 s15, 0x3fe45f30
	v_mul_f64 v[14:15], |v[10:11]|, s[14:15]
	s_mov_b32 s14, 0x54442d18
	v_rndne_f64_e32 v[18:19], v[14:15]
	s_mov_b32 s15, 0xbff921fb
	v_fma_f64 v[14:15], v[18:19], s[14:15], |v[10:11]|
	s_mov_b32 s15, 0xbc91a626
	s_mov_b32 s14, 0x33145c00
	v_mul_f64 v[20:21], v[18:19], s[14:15]
	v_add_f64 v[30:31], v[14:15], v[20:21]
	v_fma_f64 v[16:17], s[14:15], v[18:19], v[14:15]
	s_mov_b32 s15, 0x3c91a626
	v_add_f64 v[14:15], v[14:15], -v[30:31]
	v_fma_f64 v[28:29], s[14:15], v[18:19], v[20:21]
	v_add_f64 v[14:15], v[14:15], v[20:21]
	v_add_f64 v[20:21], v[30:31], -v[16:17]
	v_add_f64 v[14:15], v[20:21], v[14:15]
	s_mov_b32 s14, 0x252049c0
	v_add_f64 v[20:21], v[14:15], -v[28:29]
	s_mov_b32 s15, 0xb97b839a
	v_fmac_f64_e32 v[20:21], s[14:15], v[18:19]
	v_add_f64 v[14:15], v[16:17], v[20:21]
	v_add_f64 v[16:17], v[14:15], -v[16:17]
	v_add_f64 v[16:17], v[20:21], -v[16:17]
	v_cvt_i32_f64_e32 v28, v[18:19]
.LBB5_46:
	s_or_b64 exec, exec, s[4:5]
                                        ; implicit-def: $vgpr29
                                        ; implicit-def: $vgpr18_vgpr19
                                        ; implicit-def: $vgpr20_vgpr21
	s_and_saveexec_b64 s[4:5], s[12:13]
	s_xor_b64 s[12:13], exec, s[4:5]
	s_cbranch_execz .LBB5_48
; %bb.47:
	s_mov_b32 s4, 0
	s_mov_b32 s5, 0x7b000000
	s_movk_i32 s14, 0xff80
	v_and_b32_e32 v20, 0x7fffffff, v11
	v_ldexp_f64 v[18:19], |v[10:11]|, s14
	v_cmp_ge_f64_e64 vcc, |v[10:11]|, s[4:5]
	v_cndmask_b32_e32 v19, v20, v19, vcc
	v_cndmask_b32_e32 v18, v10, v18, vcc
	v_mul_f64 v[30:31], v[26:27], v[18:19]
	v_mul_f64 v[20:21], v[24:25], v[18:19]
	v_fma_f64 v[26:27], v[26:27], v[18:19], -v[30:31]
	v_add_f64 v[32:33], v[20:21], v[26:27]
	v_add_f64 v[34:35], v[30:31], v[32:33]
	s_mov_b32 s4, 0
	v_ldexp_f64 v[36:37], v[34:35], -2
	s_mov_b32 s5, 0x7ff00000
	v_fract_f64_e32 v[38:39], v[36:37]
	v_cmp_neq_f64_e64 vcc, |v[36:37]|, s[4:5]
	v_cndmask_b32_e32 v37, 0, v39, vcc
	v_cndmask_b32_e32 v36, 0, v38, vcc
	v_add_f64 v[38:39], v[32:33], -v[20:21]
	v_add_f64 v[26:27], v[26:27], -v[38:39]
	;; [unrolled: 1-line block ×4, first 2 shown]
	v_fma_f64 v[20:21], v[24:25], v[18:19], -v[20:21]
	v_mul_f64 v[24:25], v[22:23], v[18:19]
	v_add_f64 v[26:27], v[26:27], v[38:39]
	v_add_f64 v[38:39], v[24:25], v[20:21]
	;; [unrolled: 1-line block ×3, first 2 shown]
	v_add_f64 v[30:31], v[34:35], -v[30:31]
	v_add_f64 v[34:35], v[42:43], -v[38:39]
	;; [unrolled: 1-line block ×5, first 2 shown]
	v_add_f64 v[26:27], v[26:27], v[34:35]
	v_add_f64 v[34:35], v[38:39], -v[24:25]
	v_add_f64 v[20:21], v[20:21], -v[34:35]
	;; [unrolled: 1-line block ×4, first 2 shown]
	v_add_f64 v[20:21], v[20:21], v[34:35]
	v_add_f64 v[30:31], v[32:33], -v[30:31]
	v_add_f64 v[20:21], v[20:21], v[26:27]
	v_fma_f64 v[18:19], v[22:23], v[18:19], -v[24:25]
	v_add_f64 v[32:33], v[30:31], v[42:43]
	v_add_f64 v[18:19], v[18:19], v[20:21]
	v_ldexp_f64 v[20:21], v[36:37], 2
	v_add_f64 v[22:23], v[32:33], v[20:21]
	v_mov_b32_e32 v24, 0x40100000
	v_cmp_gt_f64_e32 vcc, 0, v[22:23]
	v_mov_b32_e32 v40, 0
	v_cndmask_b32_e32 v41, 0, v24, vcc
	v_add_f64 v[20:21], v[20:21], v[40:41]
	v_add_f64 v[22:23], v[32:33], v[20:21]
	v_cvt_i32_f64_e32 v24, v[22:23]
	v_cvt_f64_i32_e32 v[22:23], v24
	v_add_f64 v[20:21], v[20:21], -v[22:23]
	v_add_f64 v[30:31], v[32:33], -v[30:31]
	v_add_f64 v[22:23], v[32:33], v[20:21]
	v_add_f64 v[30:31], v[42:43], -v[30:31]
	v_add_f64 v[20:21], v[22:23], -v[20:21]
	v_add_f64 v[18:19], v[30:31], v[18:19]
	v_add_f64 v[20:21], v[32:33], -v[20:21]
	v_add_f64 v[18:19], v[18:19], v[20:21]
	v_cmp_le_f64_e32 vcc, 0.5, v[22:23]
	v_mov_b32_e32 v20, 0x3ff00000
	v_cndmask_b32_e32 v41, 0, v20, vcc
	v_addc_co_u32_e64 v29, s[4:5], 0, v24, vcc
	v_add_f64 v[20:21], v[22:23], -v[40:41]
	v_add_f64 v[22:23], v[20:21], v[18:19]
	s_mov_b32 s4, 0x54442d18
	v_add_f64 v[20:21], v[22:23], -v[20:21]
	s_mov_b32 s5, 0x3ff921fb
	v_add_f64 v[18:19], v[18:19], -v[20:21]
	v_mul_f64 v[20:21], v[22:23], s[4:5]
	s_mov_b32 s14, 0x33145c07
	v_fma_f64 v[24:25], v[22:23], s[4:5], -v[20:21]
	s_mov_b32 s15, 0x3c91a626
	v_fmac_f64_e32 v[24:25], s[14:15], v[22:23]
	v_fmac_f64_e32 v[24:25], s[4:5], v[18:19]
	v_add_f64 v[18:19], v[20:21], v[24:25]
	v_add_f64 v[20:21], v[18:19], -v[20:21]
	v_add_f64 v[20:21], v[24:25], -v[20:21]
	s_andn2_saveexec_b64 s[4:5], s[12:13]
	s_cbranch_execnz .LBB5_49
	s_branch .LBB5_50
.LBB5_48:
	s_andn2_saveexec_b64 s[4:5], s[12:13]
	s_cbranch_execz .LBB5_50
.LBB5_49:
	s_mov_b32 s12, 0x6dc9c883
	s_mov_b32 s13, 0x3fe45f30
	v_mul_f64 v[18:19], |v[10:11]|, s[12:13]
	s_mov_b32 s12, 0x54442d18
	v_rndne_f64_e32 v[22:23], v[18:19]
	s_mov_b32 s13, 0xbff921fb
	v_fma_f64 v[18:19], v[22:23], s[12:13], |v[10:11]|
	s_mov_b32 s13, 0xbc91a626
	s_mov_b32 s12, 0x33145c00
	v_mul_f64 v[24:25], v[22:23], s[12:13]
	v_add_f64 v[30:31], v[18:19], v[24:25]
	v_fma_f64 v[20:21], s[12:13], v[22:23], v[18:19]
	s_mov_b32 s13, 0x3c91a626
	v_add_f64 v[18:19], v[18:19], -v[30:31]
	v_fma_f64 v[26:27], s[12:13], v[22:23], v[24:25]
	v_add_f64 v[18:19], v[18:19], v[24:25]
	v_add_f64 v[24:25], v[30:31], -v[20:21]
	v_add_f64 v[18:19], v[24:25], v[18:19]
	s_mov_b32 s12, 0x252049c0
	v_add_f64 v[24:25], v[18:19], -v[26:27]
	s_mov_b32 s13, 0xb97b839a
	v_fmac_f64_e32 v[24:25], s[12:13], v[22:23]
	v_add_f64 v[18:19], v[20:21], v[24:25]
	v_add_f64 v[20:21], v[18:19], -v[20:21]
	v_add_f64 v[20:21], v[24:25], -v[20:21]
	v_cvt_i32_f64_e32 v29, v[22:23]
.LBB5_50:
	s_or_b64 exec, exec, s[4:5]
	s_mov_b32 s4, 0
	s_mov_b32 s5, 0x40390000
	v_div_scale_f64 v[22:23], s[12:13], v[12:13], v[12:13], s[4:5]
	v_rcp_f64_e32 v[24:25], v[22:23]
	v_mov_b32_e32 v32, 0xb1759c7f
	v_mov_b32_e32 v33, 0x408ac370
	v_mov_b32_e32 v36, 0x6280a54
	v_fma_f64 v[26:27], -v[22:23], v[24:25], 1.0
	v_fmac_f64_e32 v[24:25], v[24:25], v[26:27]
	v_fma_f64 v[26:27], -v[22:23], v[24:25], 1.0
	v_fmac_f64_e32 v[24:25], v[24:25], v[26:27]
	v_div_scale_f64 v[26:27], vcc, s[4:5], v[12:13], s[4:5]
	v_mul_f64 v[30:31], v[26:27], v[24:25]
	v_fma_f64 v[22:23], -v[22:23], v[30:31], v[26:27]
	v_mov_b32_e32 v26, 0xab5454e3
	s_nop 0
	v_div_fmas_f64 v[22:23], v[22:23], v[24:25], v[30:31]
	v_div_fixup_f64 v[12:13], v[22:23], v[12:13], s[4:5]
	v_mov_b32_e32 v22, 0x983b6b27
	v_mov_b32_e32 v23, 0x3f4a1d30
	v_fmac_f64_e32 v[22:23], 0, v[12:13]
	v_mov_b32_e32 v24, 0xb35dd1cf
	v_mov_b32_e32 v25, 0x3fb534b0
	v_fmac_f64_e32 v[24:25], v[12:13], v[22:23]
	;; [unrolled: 3-line block ×7, first 2 shown]
	v_mov_b32_e32 v27, 0x3fb5ebc5
	v_fmac_f64_e32 v[26:27], v[12:13], v[22:23]
	v_mov_b32_e32 v22, 0xc9b3069f
	v_mov_b32_e32 v23, 0x3ff40e72
	v_fmac_f64_e32 v[22:23], v[12:13], v[26:27]
	v_mov_b32_e32 v26, 0xe68162bb
	v_mov_b32_e32 v27, 0x4015e247
	v_fmac_f64_e32 v[26:27], v[12:13], v[22:23]
	v_mov_b32_e32 v22, 0xea1b21a1
	v_mov_b32_e32 v23, 0x40218618
	v_fmac_f64_e32 v[22:23], v[12:13], v[26:27]
	v_mov_b32_e32 v26, 0xed423a19
	v_mov_b32_e32 v27, 0x40153965
	v_fmac_f64_e32 v[26:27], v[12:13], v[22:23]
	v_fma_f64 v[22:23], v[12:13], v[26:27], 1.0
	v_mov_b32_e32 v26, 0x38a5384a
	v_mov_b32_e32 v27, 0xbf874742
	v_fmac_f64_e32 v[26:27], 0, v[12:13]
	v_mov_b32_e32 v30, 0x3a321174
	v_mov_b32_e32 v31, 0xbff4853b
	v_fmac_f64_e32 v[30:31], v[12:13], v[26:27]
	;; [unrolled: 3-line block ×9, first 2 shown]
	v_fmac_f64_e32 v[32:33], v[12:13], v[26:27]
	v_mov_b32_e32 v26, 0xbd748cb5
	v_mov_b32_e32 v27, 0x40ae54cd
	v_fmac_f64_e32 v[26:27], v[12:13], v[32:33]
	v_mov_b32_e32 v32, 0xbdefd63e
	v_mov_b32_e32 v33, 0x40bc4877
	;; [unrolled: 3-line block ×4, first 2 shown]
	v_fma_f64 v[24:25], v[12:13], v[24:25], 1.0
	v_fmac_f64_e32 v[32:33], v[12:13], v[26:27]
	v_div_scale_f64 v[26:27], s[4:5], v[22:23], v[22:23], v[24:25]
	v_rcp_f64_e32 v[34:35], v[26:27]
	v_mov_b32_e32 v37, 0x406e402f
	v_fmac_f64_e32 v[36:37], v[12:13], v[32:33]
	s_mov_b32 s4, 0x9037ab78
	v_fma_f64 v[12:13], -v[26:27], v[34:35], 1.0
	v_fmac_f64_e32 v[34:35], v[34:35], v[12:13]
	v_fma_f64 v[12:13], -v[26:27], v[34:35], 1.0
	v_fmac_f64_e32 v[34:35], v[34:35], v[12:13]
	v_div_scale_f64 v[12:13], vcc, v[24:25], v[22:23], v[24:25]
	v_mul_f64 v[32:33], v[12:13], v[34:35]
	v_fma_f64 v[12:13], -v[26:27], v[32:33], v[12:13]
	s_mov_b32 s5, 0x3e21eeb6
	s_nop 0
	v_div_fmas_f64 v[12:13], v[12:13], v[34:35], v[32:33]
	s_mov_b32 s12, 0x46cc5e42
	v_div_fixup_f64 v[12:13], v[12:13], v[22:23], v[24:25]
	v_mul_f64 v[22:23], v[14:15], v[14:15]
	s_mov_b32 s13, 0xbda907db
	v_pk_mov_b32 v[34:35], s[4:5], s[4:5] op_sel:[0,1]
	s_mov_b32 s14, 0xa17f65f6
	v_mul_f64 v[24:25], v[22:23], 0.5
	v_fma_f64 v[38:39], s[12:13], v[22:23], v[34:35]
	s_mov_b32 s15, 0xbe927e4f
	s_mov_b32 s20, 0x19f4ec90
	v_add_f64 v[26:27], -v[24:25], 1.0
	v_fma_f64 v[38:39], v[22:23], v[38:39], s[14:15]
	s_mov_b32 s21, 0x3efa01a0
	s_mov_b32 s22, 0x16c16967
	v_add_f64 v[32:33], -v[26:27], 1.0
	v_fma_f64 v[38:39], v[22:23], v[38:39], s[20:21]
	s_mov_b32 s23, 0xbf56c16c
	s_mov_b32 s24, 0x55555555
	v_add_f64 v[24:25], v[32:33], -v[24:25]
	v_fma_f64 v[38:39], v[22:23], v[38:39], s[22:23]
	s_mov_b32 s25, 0x3fa55555
	v_mul_f64 v[32:33], v[22:23], v[22:23]
	v_fma_f64 v[38:39], v[22:23], v[38:39], s[24:25]
	v_fma_f64 v[24:25], v[14:15], -v[16:17], v[24:25]
	s_mov_b32 s4, 0xb42fdfa7
	v_fmac_f64_e32 v[24:25], v[32:33], v[38:39]
	s_mov_b32 s5, 0xbe5ae600
	s_mov_b32 s26, 0xf9a43bb8
	v_add_f64 v[24:25], v[26:27], v[24:25]
	s_mov_b32 s27, 0x3de5e0b2
	v_pk_mov_b32 v[26:27], s[4:5], s[4:5] op_sel:[0,1]
	s_mov_b32 s28, 0x796cde01
	v_fma_f64 v[32:33], s[26:27], v[22:23], v[26:27]
	s_mov_b32 s29, 0x3ec71de3
	s_mov_b32 s30, 0x19e83e5c
	v_fma_f64 v[32:33], v[22:23], v[32:33], s[28:29]
	s_mov_b32 s31, 0xbf2a01a0
	;; [unrolled: 3-line block ×3, first 2 shown]
	v_fma_f64 v[32:33], v[22:23], v[32:33], s[34:35]
	v_mul_f64 v[38:39], v[14:15], -v[22:23]
	v_mul_f64 v[40:41], v[16:17], 0.5
	v_fmac_f64_e32 v[40:41], v[38:39], v[32:33]
	v_fma_f64 v[16:17], v[22:23], v[40:41], -v[16:17]
	s_mov_b32 s37, 0xbfc55555
	s_mov_b32 s36, s24
	v_fmac_f64_e32 v[16:17], s[36:37], v[38:39]
	v_add_f64 v[14:15], v[14:15], -v[16:17]
	v_and_b32_e32 v16, 1, v28
	v_xor_b32_e32 v15, 0x80000000, v15
	v_cmp_eq_u32_e32 vcc, 0, v16
	v_cndmask_b32_e32 v22, v14, v24, vcc
	v_cndmask_b32_e32 v14, v15, v25, vcc
	v_lshlrev_b32_e32 v15, 30, v28
	s_mov_b32 s38, 0
	v_and_b32_e32 v15, 0x80000000, v15
	s_mov_b32 s39, 0xc0140000
	v_xor_b32_e32 v23, v14, v15
	v_div_scale_f64 v[14:15], s[4:5], v[2:3], v[2:3], s[38:39]
	v_rcp_f64_e32 v[16:17], v[14:15]
	s_movk_i32 s33, 0x1f8
	v_cmp_class_f64_e64 s[4:5], v[10:11], s33
	v_and_b32_e32 v10, 1, v29
	v_fma_f64 v[24:25], -v[14:15], v[16:17], 1.0
	v_fmac_f64_e32 v[16:17], v[16:17], v[24:25]
	v_fma_f64 v[24:25], -v[14:15], v[16:17], 1.0
	v_fmac_f64_e32 v[16:17], v[16:17], v[24:25]
	v_div_scale_f64 v[24:25], vcc, s[38:39], v[2:3], s[38:39]
	v_mul_f64 v[32:33], v[24:25], v[16:17]
	v_fma_f64 v[14:15], -v[14:15], v[32:33], v[24:25]
	v_div_scale_f64 v[24:25], s[40:41], v[36:37], v[36:37], v[30:31]
	v_rcp_f64_e32 v[38:39], v[24:25]
	v_div_fmas_f64 v[14:15], v[14:15], v[16:17], v[32:33]
	v_div_fixup_f64 v[14:15], v[14:15], v[2:3], s[38:39]
	v_mov_b32_e32 v28, 0x7ff80000
	v_fma_f64 v[16:17], -v[24:25], v[38:39], 1.0
	v_fmac_f64_e32 v[38:39], v[38:39], v[16:17]
	v_fma_f64 v[16:17], -v[24:25], v[38:39], 1.0
	v_fmac_f64_e32 v[38:39], v[38:39], v[16:17]
	v_div_scale_f64 v[16:17], vcc, v[30:31], v[36:37], v[30:31]
	v_mul_f64 v[32:33], v[16:17], v[38:39]
	v_fma_f64 v[16:17], -v[24:25], v[32:33], v[16:17]
	v_cndmask_b32_e64 v22, 0, v22, s[4:5]
	s_nop 0
	v_div_fmas_f64 v[16:17], v[16:17], v[38:39], v[32:33]
	v_div_fixup_f64 v[16:17], v[16:17], v[36:37], v[30:31]
	v_mul_f64 v[14:15], v[14:15], v[16:17]
	v_mul_f64 v[16:17], v[18:19], v[18:19]
	v_mul_f64 v[24:25], v[16:17], 0.5
	v_fmac_f64_e32 v[34:35], s[12:13], v[16:17]
	v_add_f64 v[30:31], -v[24:25], 1.0
	v_fma_f64 v[34:35], v[16:17], v[34:35], s[14:15]
	v_add_f64 v[32:33], -v[30:31], 1.0
	v_fma_f64 v[34:35], v[16:17], v[34:35], s[20:21]
	v_add_f64 v[24:25], v[32:33], -v[24:25]
	v_fma_f64 v[34:35], v[16:17], v[34:35], s[22:23]
	v_fmac_f64_e32 v[26:27], s[26:27], v[16:17]
	v_mul_f64 v[32:33], v[16:17], v[16:17]
	v_fma_f64 v[34:35], v[16:17], v[34:35], s[24:25]
	v_fma_f64 v[24:25], v[18:19], -v[20:21], v[24:25]
	v_fma_f64 v[26:27], v[16:17], v[26:27], s[28:29]
	v_fmac_f64_e32 v[24:25], v[32:33], v[34:35]
	v_fma_f64 v[26:27], v[16:17], v[26:27], s[30:31]
	v_add_f64 v[24:25], v[30:31], v[24:25]
	v_fma_f64 v[26:27], v[16:17], v[26:27], s[34:35]
	v_mul_f64 v[30:31], v[18:19], -v[16:17]
	v_mul_f64 v[32:33], v[20:21], 0.5
	v_fmac_f64_e32 v[32:33], v[30:31], v[26:27]
	v_fma_f64 v[16:17], v[16:17], v[32:33], -v[20:21]
	v_fmac_f64_e32 v[16:17], s[36:37], v[30:31]
	v_add_f64 v[16:17], v[18:19], -v[16:17]
	v_cmp_eq_u32_e32 vcc, 0, v10
	v_cndmask_b32_e32 v10, v24, v16, vcc
	v_cndmask_b32_e32 v16, v25, v17, vcc
	v_lshlrev_b32_e32 v17, 30, v29
	v_xor_b32_e32 v11, v17, v11
	v_and_b32_e32 v11, 0x80000000, v11
	v_xor_b32_e32 v11, v16, v11
	v_cndmask_b32_e64 v23, v28, v23, s[4:5]
	v_cndmask_b32_e64 v10, 0, v10, s[4:5]
	;; [unrolled: 1-line block ×3, first 2 shown]
	s_mov_b32 s4, 0
	s_brev_b32 s5, 8
	v_mul_f64 v[10:11], v[14:15], v[10:11]
	v_cmp_gt_f64_e32 vcc, s[4:5], v[2:3]
	v_fmac_f64_e32 v[10:11], v[12:13], v[22:23]
	v_cndmask_b32_e64 v12, 0, 1, vcc
	v_lshlrev_b32_e32 v12, 8, v12
	v_ldexp_f64 v[2:3], v[2:3], v12
	v_rsq_f64_e32 v[12:13], v[2:3]
	s_mov_b32 s4, 0x33d43651
	s_mov_b32 s5, 0x3fe98845
	v_mul_f64 v[10:11], v[10:11], s[4:5]
	v_mul_f64 v[14:15], v[2:3], v[12:13]
	v_mul_f64 v[12:13], v[12:13], 0.5
	v_fma_f64 v[16:17], -v[12:13], v[14:15], 0.5
	v_fmac_f64_e32 v[14:15], v[14:15], v[16:17]
	v_fma_f64 v[18:19], -v[14:15], v[14:15], v[2:3]
	v_fmac_f64_e32 v[12:13], v[12:13], v[16:17]
	v_fmac_f64_e32 v[14:15], v[18:19], v[12:13]
	v_fma_f64 v[16:17], -v[14:15], v[14:15], v[2:3]
	v_fmac_f64_e32 v[14:15], v[16:17], v[12:13]
	v_mov_b32_e32 v12, 0xffffff80
	v_cndmask_b32_e32 v12, 0, v12, vcc
	v_ldexp_f64 v[12:13], v[14:15], v12
	v_mov_b32_e32 v14, 0x260
	v_cmp_class_f64_e32 vcc, v[2:3], v14
	v_cndmask_b32_e32 v3, v13, v3, vcc
	v_cndmask_b32_e32 v2, v12, v2, vcc
	v_div_scale_f64 v[12:13], s[4:5], v[2:3], v[2:3], v[10:11]
	v_rcp_f64_e32 v[14:15], v[12:13]
	v_fma_f64 v[16:17], -v[12:13], v[14:15], 1.0
	v_fmac_f64_e32 v[14:15], v[14:15], v[16:17]
	v_fma_f64 v[16:17], -v[12:13], v[14:15], 1.0
	v_fmac_f64_e32 v[14:15], v[14:15], v[16:17]
	v_div_scale_f64 v[16:17], vcc, v[10:11], v[2:3], v[10:11]
	v_mul_f64 v[18:19], v[16:17], v[14:15]
	v_fma_f64 v[12:13], -v[12:13], v[18:19], v[16:17]
	s_nop 1
	v_div_fmas_f64 v[12:13], v[12:13], v[14:15], v[18:19]
	v_div_fixup_f64 v[10:11], v[12:13], v[2:3], v[10:11]
.LBB5_51:
	s_or_b64 exec, exec, s[10:11]
	v_xor_b32_e32 v2, 0x80000000, v5
	v_cmp_gt_f64_e32 vcc, 0, v[4:5]
	s_mov_b32 s4, 0
	v_cndmask_b32_e32 v5, v5, v2, vcc
	s_mov_b32 s5, 0x40140000
	v_cmp_ge_f64_e32 vcc, s[4:5], v[4:5]
	v_mul_f64 v[14:15], v[4:5], v[4:5]
	s_and_saveexec_b64 s[4:5], vcc
	s_xor_b64 s[4:5], exec, s[4:5]
	s_cbranch_execz .LBB5_57
; %bb.52:
	s_mov_b32 s10, 0x88e368f1
	s_mov_b32 s11, 0x3ee4f8b5
	v_cmp_ngt_f64_e32 vcc, s[10:11], v[4:5]
	s_and_saveexec_b64 s[10:11], vcc
	s_xor_b64 s[10:11], exec, s[10:11]
	s_cbranch_execz .LBB5_54
; %bb.53:
	v_mov_b32_e32 v2, 0xad1c8325
	v_mov_b32_e32 v3, 0xc1f1dc53
	v_fmac_f64_e32 v[2:3], 0, v[14:15]
	v_mov_b32_e32 v4, 0xc772990d
	v_mov_b32_e32 v5, 0x427c7751
	v_fmac_f64_e32 v[4:5], v[14:15], v[2:3]
	;; [unrolled: 3-line block ×10, first 2 shown]
	v_mov_b32_e32 v12, 0xc7b662cc
	v_mov_b32_e32 v13, 0x43b7be34
	s_mov_b32 s12, 0x80462bbb
	v_fmac_f64_e32 v[12:13], v[14:15], v[4:5]
	v_mov_b32_e32 v4, 0x69ff5fb4
	v_mov_b32_e32 v5, 0x43413ef8
	s_mov_b32 s13, 0xc01721fb
	v_fmac_f64_e32 v[4:5], v[14:15], v[2:3]
	v_add_f64 v[2:3], v[14:15], s[12:13]
	s_mov_b32 s12, 0xa621dd6f
	s_mov_b32 s13, 0xc03e78a4
	v_add_f64 v[14:15], v[14:15], s[12:13]
	v_mul_f64 v[2:3], v[2:3], v[14:15]
	v_mul_f64 v[2:3], v[2:3], v[4:5]
	v_div_scale_f64 v[4:5], s[12:13], v[12:13], v[12:13], v[2:3]
	v_rcp_f64_e32 v[14:15], v[4:5]
	v_fma_f64 v[16:17], -v[4:5], v[14:15], 1.0
	v_fmac_f64_e32 v[14:15], v[14:15], v[16:17]
	v_fma_f64 v[16:17], -v[4:5], v[14:15], 1.0
	v_fmac_f64_e32 v[14:15], v[14:15], v[16:17]
	v_div_scale_f64 v[16:17], vcc, v[2:3], v[12:13], v[2:3]
	v_mul_f64 v[18:19], v[16:17], v[14:15]
	v_fma_f64 v[4:5], -v[4:5], v[18:19], v[16:17]
	s_nop 1
	v_div_fmas_f64 v[4:5], v[4:5], v[14:15], v[18:19]
	v_div_fixup_f64 v[12:13], v[4:5], v[12:13], v[2:3]
                                        ; implicit-def: $vgpr14_vgpr15
.LBB5_54:
	s_andn2_saveexec_b64 s[10:11], s[10:11]
; %bb.55:
	s_mov_b32 s12, 0
	s_mov_b32 s13, 0xbfd00000
	v_fma_f64 v[12:13], v[14:15], s[12:13], 1.0
; %bb.56:
	s_or_b64 exec, exec, s[10:11]
                                        ; implicit-def: $vgpr14_vgpr15
                                        ; implicit-def: $vgpr4_vgpr5
.LBB5_57:
	s_andn2_saveexec_b64 s[10:11], s[4:5]
	s_cbranch_execz .LBB5_67
; %bb.58:
	s_mov_b32 s15, 0xbfe921fb
	s_mov_b32 s14, 0x54442d18
	;; [unrolled: 1-line block ×3, first 2 shown]
	v_add_f64 v[2:3], v[4:5], s[14:15]
	s_mov_b32 s5, 0x41d00000
	v_cmp_nlt_f64_e64 s[12:13], |v[2:3]|, s[4:5]
	v_trig_preop_f64 v[26:27], |v[2:3]|, 0
	v_trig_preop_f64 v[24:25], |v[2:3]|, 1
	;; [unrolled: 1-line block ×3, first 2 shown]
                                        ; implicit-def: $vgpr28
                                        ; implicit-def: $vgpr12_vgpr13
                                        ; implicit-def: $vgpr16_vgpr17
	s_and_saveexec_b64 s[4:5], s[12:13]
	s_xor_b64 s[20:21], exec, s[4:5]
	s_cbranch_execz .LBB5_60
; %bb.59:
	s_mov_b32 s4, 0
	s_mov_b32 s5, 0x7b000000
	s_movk_i32 s15, 0xff80
	v_and_b32_e32 v16, 0x7fffffff, v3
	v_ldexp_f64 v[12:13], |v[2:3]|, s15
	v_cmp_ge_f64_e64 vcc, |v[2:3]|, s[4:5]
	v_cndmask_b32_e32 v13, v16, v13, vcc
	v_cndmask_b32_e32 v12, v2, v12, vcc
	v_mul_f64 v[18:19], v[26:27], v[12:13]
	v_mul_f64 v[16:17], v[24:25], v[12:13]
	v_fma_f64 v[20:21], v[26:27], v[12:13], -v[18:19]
	v_add_f64 v[28:29], v[16:17], v[20:21]
	v_add_f64 v[30:31], v[18:19], v[28:29]
	s_mov_b32 s4, 0
	v_ldexp_f64 v[32:33], v[30:31], -2
	s_mov_b32 s5, 0x7ff00000
	v_fract_f64_e32 v[34:35], v[32:33]
	v_cmp_neq_f64_e64 vcc, |v[32:33]|, s[4:5]
	v_cndmask_b32_e32 v33, 0, v35, vcc
	v_cndmask_b32_e32 v32, 0, v34, vcc
	v_add_f64 v[34:35], v[28:29], -v[16:17]
	v_add_f64 v[20:21], v[20:21], -v[34:35]
	;; [unrolled: 1-line block ×4, first 2 shown]
	v_add_f64 v[20:21], v[20:21], v[34:35]
	v_fma_f64 v[16:17], v[24:25], v[12:13], -v[16:17]
	v_mul_f64 v[34:35], v[22:23], v[12:13]
	v_add_f64 v[38:39], v[34:35], v[16:17]
	v_add_f64 v[40:41], v[38:39], v[20:21]
	v_add_f64 v[18:19], v[30:31], -v[18:19]
	v_add_f64 v[30:31], v[40:41], -v[38:39]
	;; [unrolled: 1-line block ×5, first 2 shown]
	v_add_f64 v[20:21], v[20:21], v[30:31]
	v_add_f64 v[30:31], v[38:39], -v[34:35]
	v_add_f64 v[16:17], v[16:17], -v[30:31]
	;; [unrolled: 1-line block ×5, first 2 shown]
	v_add_f64 v[28:29], v[18:19], v[40:41]
	v_add_f64 v[16:17], v[16:17], v[30:31]
	v_add_f64 v[18:19], v[28:29], -v[18:19]
	v_add_f64 v[16:17], v[16:17], v[20:21]
	v_fma_f64 v[12:13], v[22:23], v[12:13], -v[34:35]
	v_add_f64 v[18:19], v[40:41], -v[18:19]
	v_add_f64 v[12:13], v[12:13], v[16:17]
	v_ldexp_f64 v[16:17], v[32:33], 2
	v_add_f64 v[12:13], v[18:19], v[12:13]
	v_add_f64 v[18:19], v[28:29], v[16:17]
	v_mov_b32_e32 v20, 0x40100000
	v_cmp_gt_f64_e32 vcc, 0, v[18:19]
	v_mov_b32_e32 v36, 0
	v_cndmask_b32_e32 v37, 0, v20, vcc
	v_add_f64 v[16:17], v[16:17], v[36:37]
	v_add_f64 v[18:19], v[28:29], v[16:17]
	v_cvt_i32_f64_e32 v20, v[18:19]
	v_cvt_f64_i32_e32 v[18:19], v20
	v_add_f64 v[16:17], v[16:17], -v[18:19]
	v_add_f64 v[18:19], v[28:29], v[16:17]
	v_add_f64 v[16:17], v[18:19], -v[16:17]
	v_add_f64 v[16:17], v[28:29], -v[16:17]
	v_add_f64 v[12:13], v[12:13], v[16:17]
	v_cmp_le_f64_e32 vcc, 0.5, v[18:19]
	v_mov_b32_e32 v16, 0x3ff00000
	v_cndmask_b32_e32 v37, 0, v16, vcc
	v_add_f64 v[16:17], v[18:19], -v[36:37]
	v_add_f64 v[18:19], v[16:17], v[12:13]
	v_addc_co_u32_e64 v28, s[4:5], 0, v20, vcc
	v_add_f64 v[16:17], v[18:19], -v[16:17]
	s_mov_b32 s15, 0x3ff921fb
	v_add_f64 v[12:13], v[12:13], -v[16:17]
	v_mul_f64 v[16:17], v[18:19], s[14:15]
	s_mov_b32 s4, 0x33145c07
	v_fma_f64 v[20:21], v[18:19], s[14:15], -v[16:17]
	s_mov_b32 s5, 0x3c91a626
	v_fmac_f64_e32 v[20:21], s[4:5], v[18:19]
	v_fmac_f64_e32 v[20:21], s[14:15], v[12:13]
	v_add_f64 v[12:13], v[16:17], v[20:21]
	v_add_f64 v[16:17], v[12:13], -v[16:17]
	v_add_f64 v[16:17], v[20:21], -v[16:17]
	s_andn2_saveexec_b64 s[4:5], s[20:21]
	s_cbranch_execz .LBB5_62
	s_branch .LBB5_61
.LBB5_60:
	s_andn2_saveexec_b64 s[4:5], s[20:21]
	s_cbranch_execz .LBB5_62
.LBB5_61:
	s_mov_b32 s14, 0x6dc9c883
	s_mov_b32 s15, 0x3fe45f30
	v_mul_f64 v[12:13], |v[2:3]|, s[14:15]
	s_mov_b32 s14, 0x54442d18
	v_rndne_f64_e32 v[18:19], v[12:13]
	s_mov_b32 s15, 0xbff921fb
	v_fma_f64 v[12:13], v[18:19], s[14:15], |v[2:3]|
	s_mov_b32 s15, 0xbc91a626
	s_mov_b32 s14, 0x33145c00
	v_mul_f64 v[20:21], v[18:19], s[14:15]
	v_add_f64 v[30:31], v[12:13], v[20:21]
	v_fma_f64 v[16:17], s[14:15], v[18:19], v[12:13]
	s_mov_b32 s15, 0x3c91a626
	v_add_f64 v[12:13], v[12:13], -v[30:31]
	v_fma_f64 v[28:29], s[14:15], v[18:19], v[20:21]
	v_add_f64 v[12:13], v[12:13], v[20:21]
	v_add_f64 v[20:21], v[30:31], -v[16:17]
	v_add_f64 v[12:13], v[20:21], v[12:13]
	s_mov_b32 s14, 0x252049c0
	v_add_f64 v[20:21], v[12:13], -v[28:29]
	s_mov_b32 s15, 0xb97b839a
	v_fmac_f64_e32 v[20:21], s[14:15], v[18:19]
	v_add_f64 v[12:13], v[16:17], v[20:21]
	v_add_f64 v[16:17], v[12:13], -v[16:17]
	v_add_f64 v[16:17], v[20:21], -v[16:17]
	v_cvt_i32_f64_e32 v28, v[18:19]
.LBB5_62:
	s_or_b64 exec, exec, s[4:5]
                                        ; implicit-def: $vgpr29
                                        ; implicit-def: $vgpr18_vgpr19
                                        ; implicit-def: $vgpr20_vgpr21
	s_and_saveexec_b64 s[4:5], s[12:13]
	s_xor_b64 s[12:13], exec, s[4:5]
	s_cbranch_execz .LBB5_64
; %bb.63:
	s_mov_b32 s4, 0
	s_mov_b32 s5, 0x7b000000
	s_movk_i32 s14, 0xff80
	v_and_b32_e32 v20, 0x7fffffff, v3
	v_ldexp_f64 v[18:19], |v[2:3]|, s14
	v_cmp_ge_f64_e64 vcc, |v[2:3]|, s[4:5]
	v_cndmask_b32_e32 v19, v20, v19, vcc
	v_cndmask_b32_e32 v18, v2, v18, vcc
	v_mul_f64 v[30:31], v[26:27], v[18:19]
	v_mul_f64 v[20:21], v[24:25], v[18:19]
	v_fma_f64 v[26:27], v[26:27], v[18:19], -v[30:31]
	v_add_f64 v[32:33], v[20:21], v[26:27]
	v_add_f64 v[34:35], v[30:31], v[32:33]
	s_mov_b32 s4, 0
	v_ldexp_f64 v[36:37], v[34:35], -2
	s_mov_b32 s5, 0x7ff00000
	v_fract_f64_e32 v[38:39], v[36:37]
	v_cmp_neq_f64_e64 vcc, |v[36:37]|, s[4:5]
	v_cndmask_b32_e32 v37, 0, v39, vcc
	v_cndmask_b32_e32 v36, 0, v38, vcc
	v_add_f64 v[38:39], v[32:33], -v[20:21]
	v_add_f64 v[26:27], v[26:27], -v[38:39]
	v_add_f64 v[38:39], v[32:33], -v[38:39]
	v_add_f64 v[38:39], v[20:21], -v[38:39]
	v_fma_f64 v[20:21], v[24:25], v[18:19], -v[20:21]
	v_mul_f64 v[24:25], v[22:23], v[18:19]
	v_add_f64 v[26:27], v[26:27], v[38:39]
	v_add_f64 v[38:39], v[24:25], v[20:21]
	;; [unrolled: 1-line block ×3, first 2 shown]
	v_add_f64 v[30:31], v[34:35], -v[30:31]
	v_add_f64 v[34:35], v[42:43], -v[38:39]
	v_add_f64 v[26:27], v[26:27], -v[34:35]
	v_add_f64 v[34:35], v[42:43], -v[34:35]
	v_add_f64 v[34:35], v[38:39], -v[34:35]
	v_add_f64 v[26:27], v[26:27], v[34:35]
	v_add_f64 v[34:35], v[38:39], -v[24:25]
	v_add_f64 v[20:21], v[20:21], -v[34:35]
	;; [unrolled: 1-line block ×4, first 2 shown]
	v_add_f64 v[20:21], v[20:21], v[34:35]
	v_add_f64 v[30:31], v[32:33], -v[30:31]
	v_add_f64 v[20:21], v[20:21], v[26:27]
	v_fma_f64 v[18:19], v[22:23], v[18:19], -v[24:25]
	v_add_f64 v[32:33], v[30:31], v[42:43]
	v_add_f64 v[18:19], v[18:19], v[20:21]
	v_ldexp_f64 v[20:21], v[36:37], 2
	v_add_f64 v[22:23], v[32:33], v[20:21]
	v_mov_b32_e32 v24, 0x40100000
	v_cmp_gt_f64_e32 vcc, 0, v[22:23]
	v_mov_b32_e32 v40, 0
	v_cndmask_b32_e32 v41, 0, v24, vcc
	v_add_f64 v[20:21], v[20:21], v[40:41]
	v_add_f64 v[22:23], v[32:33], v[20:21]
	v_cvt_i32_f64_e32 v24, v[22:23]
	v_cvt_f64_i32_e32 v[22:23], v24
	v_add_f64 v[20:21], v[20:21], -v[22:23]
	v_add_f64 v[30:31], v[32:33], -v[30:31]
	v_add_f64 v[22:23], v[32:33], v[20:21]
	v_add_f64 v[30:31], v[42:43], -v[30:31]
	v_add_f64 v[20:21], v[22:23], -v[20:21]
	v_add_f64 v[18:19], v[30:31], v[18:19]
	v_add_f64 v[20:21], v[32:33], -v[20:21]
	v_add_f64 v[18:19], v[18:19], v[20:21]
	v_cmp_le_f64_e32 vcc, 0.5, v[22:23]
	v_mov_b32_e32 v20, 0x3ff00000
	v_cndmask_b32_e32 v41, 0, v20, vcc
	v_addc_co_u32_e64 v29, s[4:5], 0, v24, vcc
	v_add_f64 v[20:21], v[22:23], -v[40:41]
	v_add_f64 v[22:23], v[20:21], v[18:19]
	s_mov_b32 s4, 0x54442d18
	v_add_f64 v[20:21], v[22:23], -v[20:21]
	s_mov_b32 s5, 0x3ff921fb
	v_add_f64 v[18:19], v[18:19], -v[20:21]
	v_mul_f64 v[20:21], v[22:23], s[4:5]
	s_mov_b32 s14, 0x33145c07
	v_fma_f64 v[24:25], v[22:23], s[4:5], -v[20:21]
	s_mov_b32 s15, 0x3c91a626
	v_fmac_f64_e32 v[24:25], s[14:15], v[22:23]
	v_fmac_f64_e32 v[24:25], s[4:5], v[18:19]
	v_add_f64 v[18:19], v[20:21], v[24:25]
	v_add_f64 v[20:21], v[18:19], -v[20:21]
	v_add_f64 v[20:21], v[24:25], -v[20:21]
	s_andn2_saveexec_b64 s[4:5], s[12:13]
	s_cbranch_execnz .LBB5_65
	s_branch .LBB5_66
.LBB5_64:
	s_andn2_saveexec_b64 s[4:5], s[12:13]
	s_cbranch_execz .LBB5_66
.LBB5_65:
	s_mov_b32 s12, 0x6dc9c883
	s_mov_b32 s13, 0x3fe45f30
	v_mul_f64 v[18:19], |v[2:3]|, s[12:13]
	s_mov_b32 s12, 0x54442d18
	v_rndne_f64_e32 v[22:23], v[18:19]
	s_mov_b32 s13, 0xbff921fb
	v_fma_f64 v[18:19], v[22:23], s[12:13], |v[2:3]|
	s_mov_b32 s13, 0xbc91a626
	s_mov_b32 s12, 0x33145c00
	v_mul_f64 v[24:25], v[22:23], s[12:13]
	v_add_f64 v[30:31], v[18:19], v[24:25]
	v_fma_f64 v[20:21], s[12:13], v[22:23], v[18:19]
	s_mov_b32 s13, 0x3c91a626
	v_add_f64 v[18:19], v[18:19], -v[30:31]
	v_fma_f64 v[26:27], s[12:13], v[22:23], v[24:25]
	v_add_f64 v[18:19], v[18:19], v[24:25]
	v_add_f64 v[24:25], v[30:31], -v[20:21]
	v_add_f64 v[18:19], v[24:25], v[18:19]
	s_mov_b32 s12, 0x252049c0
	v_add_f64 v[24:25], v[18:19], -v[26:27]
	s_mov_b32 s13, 0xb97b839a
	v_fmac_f64_e32 v[24:25], s[12:13], v[22:23]
	v_add_f64 v[18:19], v[20:21], v[24:25]
	v_add_f64 v[20:21], v[18:19], -v[20:21]
	v_add_f64 v[20:21], v[24:25], -v[20:21]
	v_cvt_i32_f64_e32 v29, v[22:23]
.LBB5_66:
	s_or_b64 exec, exec, s[4:5]
	s_mov_b32 s4, 0
	s_mov_b32 s5, 0x40390000
	v_div_scale_f64 v[22:23], s[12:13], v[14:15], v[14:15], s[4:5]
	v_rcp_f64_e32 v[24:25], v[22:23]
	v_mov_b32_e32 v32, 0xb1759c7f
	v_mov_b32_e32 v33, 0x408ac370
	;; [unrolled: 1-line block ×3, first 2 shown]
	v_fma_f64 v[26:27], -v[22:23], v[24:25], 1.0
	v_fmac_f64_e32 v[24:25], v[24:25], v[26:27]
	v_fma_f64 v[26:27], -v[22:23], v[24:25], 1.0
	v_fmac_f64_e32 v[24:25], v[24:25], v[26:27]
	v_div_scale_f64 v[26:27], vcc, s[4:5], v[14:15], s[4:5]
	v_mul_f64 v[30:31], v[26:27], v[24:25]
	v_fma_f64 v[22:23], -v[22:23], v[30:31], v[26:27]
	v_mov_b32_e32 v26, 0xab5454e3
	s_nop 0
	v_div_fmas_f64 v[22:23], v[22:23], v[24:25], v[30:31]
	v_div_fixup_f64 v[14:15], v[22:23], v[14:15], s[4:5]
	v_mov_b32_e32 v22, 0x983b6b27
	v_mov_b32_e32 v23, 0x3f4a1d30
	v_fmac_f64_e32 v[22:23], 0, v[14:15]
	v_mov_b32_e32 v24, 0xb35dd1cf
	v_mov_b32_e32 v25, 0x3fb534b0
	v_fmac_f64_e32 v[24:25], v[14:15], v[22:23]
	;; [unrolled: 3-line block ×7, first 2 shown]
	v_mov_b32_e32 v27, 0x3fb5ebc5
	v_fmac_f64_e32 v[26:27], v[14:15], v[22:23]
	v_mov_b32_e32 v22, 0xc9b3069f
	v_mov_b32_e32 v23, 0x3ff40e72
	v_fmac_f64_e32 v[22:23], v[14:15], v[26:27]
	v_mov_b32_e32 v26, 0xe68162bb
	;; [unrolled: 3-line block ×4, first 2 shown]
	v_mov_b32_e32 v27, 0x40153965
	v_fmac_f64_e32 v[26:27], v[14:15], v[22:23]
	v_fma_f64 v[22:23], v[14:15], v[26:27], 1.0
	v_mov_b32_e32 v26, 0x38a5384a
	v_mov_b32_e32 v27, 0xbf874742
	v_fmac_f64_e32 v[26:27], 0, v[14:15]
	v_mov_b32_e32 v30, 0x3a321174
	v_mov_b32_e32 v31, 0xbff4853b
	v_fmac_f64_e32 v[30:31], v[14:15], v[26:27]
	v_mov_b32_e32 v26, 0xf50e2c0c
	v_mov_b32_e32 v27, 0xc0338dcf
	v_fmac_f64_e32 v[26:27], v[14:15], v[30:31]
	v_mov_b32_e32 v30, 0x5a6de8c4
	v_mov_b32_e32 v31, 0xc0574d2f
	v_fmac_f64_e32 v[30:31], v[14:15], v[26:27]
	v_mov_b32_e32 v26, 0x20cae8ea
	v_mov_b32_e32 v27, 0xc06635cc
	v_fmac_f64_e32 v[26:27], v[14:15], v[30:31]
	v_mov_b32_e32 v30, 0xec17392d
	v_mov_b32_e32 v31, 0xc062627a
	v_fmac_f64_e32 v[30:31], v[14:15], v[26:27]
	v_mov_b32_e32 v26, 0x55b218cd
	v_mov_b32_e32 v27, 0xc049b48c
	v_fmac_f64_e32 v[26:27], v[14:15], v[30:31]
	v_mov_b32_e32 v30, 0xd1b9a1dd
	v_mov_b32_e32 v31, 0xc0183358
	v_fmac_f64_e32 v[30:31], v[14:15], v[26:27]
	v_mov_b32_e32 v26, 0x413c25ac
	v_mov_b32_e32 v27, 0x40501457
	v_fmac_f64_e32 v[26:27], 0, v[14:15]
	v_fmac_f64_e32 v[32:33], v[14:15], v[26:27]
	v_mov_b32_e32 v26, 0xbd748cb5
	v_mov_b32_e32 v27, 0x40ae54cd
	v_fmac_f64_e32 v[26:27], v[14:15], v[32:33]
	v_mov_b32_e32 v32, 0xbdefd63e
	v_mov_b32_e32 v33, 0x40bc4877
	;; [unrolled: 3-line block ×4, first 2 shown]
	v_fma_f64 v[24:25], v[14:15], v[24:25], 1.0
	v_fmac_f64_e32 v[32:33], v[14:15], v[26:27]
	v_div_scale_f64 v[26:27], s[4:5], v[22:23], v[22:23], v[24:25]
	v_rcp_f64_e32 v[34:35], v[26:27]
	v_mov_b32_e32 v37, 0x406e402f
	v_fmac_f64_e32 v[36:37], v[14:15], v[32:33]
	s_mov_b32 s4, 0x9037ab78
	v_fma_f64 v[14:15], -v[26:27], v[34:35], 1.0
	v_fmac_f64_e32 v[34:35], v[34:35], v[14:15]
	v_fma_f64 v[14:15], -v[26:27], v[34:35], 1.0
	v_fmac_f64_e32 v[34:35], v[34:35], v[14:15]
	v_div_scale_f64 v[14:15], vcc, v[24:25], v[22:23], v[24:25]
	v_mul_f64 v[32:33], v[14:15], v[34:35]
	v_fma_f64 v[14:15], -v[26:27], v[32:33], v[14:15]
	s_mov_b32 s5, 0x3e21eeb6
	s_nop 0
	v_div_fmas_f64 v[14:15], v[14:15], v[34:35], v[32:33]
	s_mov_b32 s12, 0x46cc5e42
	v_div_fixup_f64 v[14:15], v[14:15], v[22:23], v[24:25]
	v_mul_f64 v[22:23], v[12:13], v[12:13]
	s_mov_b32 s13, 0xbda907db
	v_pk_mov_b32 v[34:35], s[4:5], s[4:5] op_sel:[0,1]
	s_mov_b32 s14, 0xa17f65f6
	v_mul_f64 v[24:25], v[22:23], 0.5
	v_fma_f64 v[38:39], s[12:13], v[22:23], v[34:35]
	s_mov_b32 s15, 0xbe927e4f
	s_mov_b32 s20, 0x19f4ec90
	v_add_f64 v[26:27], -v[24:25], 1.0
	v_fma_f64 v[38:39], v[22:23], v[38:39], s[14:15]
	s_mov_b32 s21, 0x3efa01a0
	s_mov_b32 s22, 0x16c16967
	v_add_f64 v[32:33], -v[26:27], 1.0
	v_fma_f64 v[38:39], v[22:23], v[38:39], s[20:21]
	s_mov_b32 s23, 0xbf56c16c
	s_mov_b32 s24, 0x55555555
	v_add_f64 v[24:25], v[32:33], -v[24:25]
	v_fma_f64 v[38:39], v[22:23], v[38:39], s[22:23]
	s_mov_b32 s25, 0x3fa55555
	v_mul_f64 v[32:33], v[22:23], v[22:23]
	v_fma_f64 v[38:39], v[22:23], v[38:39], s[24:25]
	v_fma_f64 v[24:25], v[12:13], -v[16:17], v[24:25]
	s_mov_b32 s4, 0xb42fdfa7
	v_fmac_f64_e32 v[24:25], v[32:33], v[38:39]
	s_mov_b32 s5, 0xbe5ae600
	s_mov_b32 s26, 0xf9a43bb8
	v_add_f64 v[24:25], v[26:27], v[24:25]
	s_mov_b32 s27, 0x3de5e0b2
	v_pk_mov_b32 v[26:27], s[4:5], s[4:5] op_sel:[0,1]
	s_mov_b32 s28, 0x796cde01
	v_fma_f64 v[32:33], s[26:27], v[22:23], v[26:27]
	s_mov_b32 s29, 0x3ec71de3
	s_mov_b32 s30, 0x19e83e5c
	v_fma_f64 v[32:33], v[22:23], v[32:33], s[28:29]
	s_mov_b32 s31, 0xbf2a01a0
	;; [unrolled: 3-line block ×3, first 2 shown]
	v_fma_f64 v[32:33], v[22:23], v[32:33], s[34:35]
	v_mul_f64 v[38:39], v[12:13], -v[22:23]
	v_mul_f64 v[40:41], v[16:17], 0.5
	v_fmac_f64_e32 v[40:41], v[38:39], v[32:33]
	v_fma_f64 v[16:17], v[22:23], v[40:41], -v[16:17]
	s_mov_b32 s37, 0xbfc55555
	s_mov_b32 s36, s24
	v_fmac_f64_e32 v[16:17], s[36:37], v[38:39]
	v_add_f64 v[12:13], v[12:13], -v[16:17]
	v_and_b32_e32 v16, 1, v28
	v_xor_b32_e32 v13, 0x80000000, v13
	v_cmp_eq_u32_e32 vcc, 0, v16
	v_cndmask_b32_e32 v22, v12, v24, vcc
	v_cndmask_b32_e32 v12, v13, v25, vcc
	v_lshlrev_b32_e32 v13, 30, v28
	s_mov_b32 s38, 0
	v_and_b32_e32 v13, 0x80000000, v13
	s_mov_b32 s39, 0xc0140000
	v_xor_b32_e32 v23, v12, v13
	v_div_scale_f64 v[12:13], s[4:5], v[4:5], v[4:5], s[38:39]
	v_rcp_f64_e32 v[16:17], v[12:13]
	s_movk_i32 s33, 0x1f8
	v_cmp_class_f64_e64 s[4:5], v[2:3], s33
	v_and_b32_e32 v2, 1, v29
	v_fma_f64 v[24:25], -v[12:13], v[16:17], 1.0
	v_fmac_f64_e32 v[16:17], v[16:17], v[24:25]
	v_fma_f64 v[24:25], -v[12:13], v[16:17], 1.0
	v_fmac_f64_e32 v[16:17], v[16:17], v[24:25]
	v_div_scale_f64 v[24:25], vcc, s[38:39], v[4:5], s[38:39]
	v_mul_f64 v[32:33], v[24:25], v[16:17]
	v_fma_f64 v[12:13], -v[12:13], v[32:33], v[24:25]
	v_div_scale_f64 v[24:25], s[40:41], v[36:37], v[36:37], v[30:31]
	v_rcp_f64_e32 v[38:39], v[24:25]
	v_div_fmas_f64 v[12:13], v[12:13], v[16:17], v[32:33]
	v_div_fixup_f64 v[12:13], v[12:13], v[4:5], s[38:39]
	v_mov_b32_e32 v28, 0x7ff80000
	v_fma_f64 v[16:17], -v[24:25], v[38:39], 1.0
	v_fmac_f64_e32 v[38:39], v[38:39], v[16:17]
	v_fma_f64 v[16:17], -v[24:25], v[38:39], 1.0
	v_fmac_f64_e32 v[38:39], v[38:39], v[16:17]
	v_div_scale_f64 v[16:17], vcc, v[30:31], v[36:37], v[30:31]
	v_mul_f64 v[32:33], v[16:17], v[38:39]
	v_fma_f64 v[16:17], -v[24:25], v[32:33], v[16:17]
	v_cndmask_b32_e64 v22, 0, v22, s[4:5]
	s_nop 0
	v_div_fmas_f64 v[16:17], v[16:17], v[38:39], v[32:33]
	v_div_fixup_f64 v[16:17], v[16:17], v[36:37], v[30:31]
	v_mul_f64 v[12:13], v[12:13], v[16:17]
	v_mul_f64 v[16:17], v[18:19], v[18:19]
	v_mul_f64 v[24:25], v[16:17], 0.5
	v_fmac_f64_e32 v[34:35], s[12:13], v[16:17]
	v_add_f64 v[30:31], -v[24:25], 1.0
	v_fma_f64 v[34:35], v[16:17], v[34:35], s[14:15]
	v_add_f64 v[32:33], -v[30:31], 1.0
	v_fma_f64 v[34:35], v[16:17], v[34:35], s[20:21]
	v_add_f64 v[24:25], v[32:33], -v[24:25]
	v_fma_f64 v[34:35], v[16:17], v[34:35], s[22:23]
	v_fmac_f64_e32 v[26:27], s[26:27], v[16:17]
	v_mul_f64 v[32:33], v[16:17], v[16:17]
	v_fma_f64 v[34:35], v[16:17], v[34:35], s[24:25]
	v_fma_f64 v[24:25], v[18:19], -v[20:21], v[24:25]
	v_fma_f64 v[26:27], v[16:17], v[26:27], s[28:29]
	v_fmac_f64_e32 v[24:25], v[32:33], v[34:35]
	v_fma_f64 v[26:27], v[16:17], v[26:27], s[30:31]
	v_add_f64 v[24:25], v[30:31], v[24:25]
	v_fma_f64 v[26:27], v[16:17], v[26:27], s[34:35]
	v_mul_f64 v[30:31], v[18:19], -v[16:17]
	v_mul_f64 v[32:33], v[20:21], 0.5
	v_fmac_f64_e32 v[32:33], v[30:31], v[26:27]
	v_fma_f64 v[16:17], v[16:17], v[32:33], -v[20:21]
	v_fmac_f64_e32 v[16:17], s[36:37], v[30:31]
	v_add_f64 v[16:17], v[18:19], -v[16:17]
	v_cmp_eq_u32_e32 vcc, 0, v2
	v_cndmask_b32_e32 v2, v24, v16, vcc
	v_cndmask_b32_e32 v16, v25, v17, vcc
	v_lshlrev_b32_e32 v17, 30, v29
	v_xor_b32_e32 v3, v17, v3
	v_and_b32_e32 v3, 0x80000000, v3
	v_xor_b32_e32 v3, v16, v3
	v_cndmask_b32_e64 v23, v28, v23, s[4:5]
	v_cndmask_b32_e64 v2, 0, v2, s[4:5]
	;; [unrolled: 1-line block ×3, first 2 shown]
	s_mov_b32 s4, 0
	s_brev_b32 s5, 8
	v_cmp_gt_f64_e32 vcc, s[4:5], v[4:5]
	v_mul_f64 v[2:3], v[12:13], v[2:3]
	v_cndmask_b32_e64 v12, 0, 1, vcc
	v_lshlrev_b32_e32 v12, 8, v12
	v_ldexp_f64 v[4:5], v[4:5], v12
	v_rsq_f64_e32 v[12:13], v[4:5]
	v_fmac_f64_e32 v[2:3], v[14:15], v[22:23]
	s_mov_b32 s4, 0x33d43651
	s_mov_b32 s5, 0x3fe98845
	v_mul_f64 v[14:15], v[4:5], v[12:13]
	v_mul_f64 v[12:13], v[12:13], 0.5
	v_fma_f64 v[16:17], -v[12:13], v[14:15], 0.5
	v_fmac_f64_e32 v[14:15], v[14:15], v[16:17]
	v_fma_f64 v[18:19], -v[14:15], v[14:15], v[4:5]
	v_fmac_f64_e32 v[12:13], v[12:13], v[16:17]
	v_fmac_f64_e32 v[14:15], v[18:19], v[12:13]
	v_fma_f64 v[16:17], -v[14:15], v[14:15], v[4:5]
	v_fmac_f64_e32 v[14:15], v[16:17], v[12:13]
	v_mov_b32_e32 v12, 0xffffff80
	v_cndmask_b32_e32 v12, 0, v12, vcc
	v_ldexp_f64 v[12:13], v[14:15], v12
	v_mov_b32_e32 v14, 0x260
	v_cmp_class_f64_e32 vcc, v[4:5], v14
	v_mul_f64 v[2:3], v[2:3], s[4:5]
	v_cndmask_b32_e32 v5, v13, v5, vcc
	v_cndmask_b32_e32 v4, v12, v4, vcc
	v_div_scale_f64 v[12:13], s[4:5], v[4:5], v[4:5], v[2:3]
	v_rcp_f64_e32 v[14:15], v[12:13]
	v_fma_f64 v[16:17], -v[12:13], v[14:15], 1.0
	v_fmac_f64_e32 v[14:15], v[14:15], v[16:17]
	v_fma_f64 v[16:17], -v[12:13], v[14:15], 1.0
	v_fmac_f64_e32 v[14:15], v[14:15], v[16:17]
	v_div_scale_f64 v[16:17], vcc, v[2:3], v[4:5], v[2:3]
	v_mul_f64 v[18:19], v[16:17], v[14:15]
	v_fma_f64 v[12:13], -v[12:13], v[18:19], v[16:17]
	s_nop 1
	v_div_fmas_f64 v[12:13], v[12:13], v[14:15], v[18:19]
	v_div_fixup_f64 v[12:13], v[12:13], v[4:5], v[2:3]
.LBB5_67:
	s_or_b64 exec, exec, s[10:11]
	s_add_u32 s4, s16, s6
	s_addc_u32 s5, s17, s7
	v_mov_b32_e32 v2, s5
	v_add_co_u32_e32 v3, vcc, s4, v1
	v_addc_co_u32_e32 v4, vcc, 0, v2, vcc
	v_add_co_u32_e32 v2, vcc, 0x1000, v3
	v_addc_co_u32_e32 v3, vcc, 0, v4, vcc
	global_store_dwordx4 v1, v[6:9], s[4:5]
	global_store_dwordx4 v[2:3], v[10:13], off
.LBB5_68:
	s_endpgm
	.section	.rodata,"a",@progbits
	.p2align	6, 0x0
	.amdhsa_kernel _ZN2at6native29vectorized_elementwise_kernelILi2EZZZNS0_12_GLOBAL__N_121bessel_j0_kernel_cudaERNS_18TensorIteratorBaseEENKUlvE_clEvENKUlvE_clEvEUldE_St5arrayIPcLm2EEEEviT0_T1_
		.amdhsa_group_segment_fixed_size 0
		.amdhsa_private_segment_fixed_size 8
		.amdhsa_kernarg_size 24
		.amdhsa_user_sgpr_count 8
		.amdhsa_user_sgpr_private_segment_buffer 1
		.amdhsa_user_sgpr_dispatch_ptr 0
		.amdhsa_user_sgpr_queue_ptr 0
		.amdhsa_user_sgpr_kernarg_segment_ptr 1
		.amdhsa_user_sgpr_dispatch_id 0
		.amdhsa_user_sgpr_flat_scratch_init 1
		.amdhsa_user_sgpr_kernarg_preload_length 0
		.amdhsa_user_sgpr_kernarg_preload_offset 0
		.amdhsa_user_sgpr_private_segment_size 0
		.amdhsa_uses_dynamic_stack 0
		.amdhsa_system_sgpr_private_segment_wavefront_offset 1
		.amdhsa_system_sgpr_workgroup_id_x 1
		.amdhsa_system_sgpr_workgroup_id_y 0
		.amdhsa_system_sgpr_workgroup_id_z 0
		.amdhsa_system_sgpr_workgroup_info 0
		.amdhsa_system_vgpr_workitem_id 0
		.amdhsa_next_free_vgpr 68
		.amdhsa_next_free_sgpr 42
		.amdhsa_accum_offset 68
		.amdhsa_reserve_vcc 1
		.amdhsa_reserve_flat_scratch 1
		.amdhsa_float_round_mode_32 0
		.amdhsa_float_round_mode_16_64 0
		.amdhsa_float_denorm_mode_32 3
		.amdhsa_float_denorm_mode_16_64 3
		.amdhsa_dx10_clamp 1
		.amdhsa_ieee_mode 1
		.amdhsa_fp16_overflow 0
		.amdhsa_tg_split 0
		.amdhsa_exception_fp_ieee_invalid_op 0
		.amdhsa_exception_fp_denorm_src 0
		.amdhsa_exception_fp_ieee_div_zero 0
		.amdhsa_exception_fp_ieee_overflow 0
		.amdhsa_exception_fp_ieee_underflow 0
		.amdhsa_exception_fp_ieee_inexact 0
		.amdhsa_exception_int_div_zero 0
	.end_amdhsa_kernel
	.section	.text._ZN2at6native29vectorized_elementwise_kernelILi2EZZZNS0_12_GLOBAL__N_121bessel_j0_kernel_cudaERNS_18TensorIteratorBaseEENKUlvE_clEvENKUlvE_clEvEUldE_St5arrayIPcLm2EEEEviT0_T1_,"axG",@progbits,_ZN2at6native29vectorized_elementwise_kernelILi2EZZZNS0_12_GLOBAL__N_121bessel_j0_kernel_cudaERNS_18TensorIteratorBaseEENKUlvE_clEvENKUlvE_clEvEUldE_St5arrayIPcLm2EEEEviT0_T1_,comdat
.Lfunc_end5:
	.size	_ZN2at6native29vectorized_elementwise_kernelILi2EZZZNS0_12_GLOBAL__N_121bessel_j0_kernel_cudaERNS_18TensorIteratorBaseEENKUlvE_clEvENKUlvE_clEvEUldE_St5arrayIPcLm2EEEEviT0_T1_, .Lfunc_end5-_ZN2at6native29vectorized_elementwise_kernelILi2EZZZNS0_12_GLOBAL__N_121bessel_j0_kernel_cudaERNS_18TensorIteratorBaseEENKUlvE_clEvENKUlvE_clEvEUldE_St5arrayIPcLm2EEEEviT0_T1_
                                        ; -- End function
	.section	.AMDGPU.csdata,"",@progbits
; Kernel info:
; codeLenInByte = 16420
; NumSgprs: 48
; NumVgprs: 68
; NumAgprs: 0
; TotalNumVgprs: 68
; ScratchSize: 8
; MemoryBound: 0
; FloatMode: 240
; IeeeMode: 1
; LDSByteSize: 0 bytes/workgroup (compile time only)
; SGPRBlocks: 5
; VGPRBlocks: 8
; NumSGPRsForWavesPerEU: 48
; NumVGPRsForWavesPerEU: 68
; AccumOffset: 68
; Occupancy: 7
; WaveLimiterHint : 1
; COMPUTE_PGM_RSRC2:SCRATCH_EN: 1
; COMPUTE_PGM_RSRC2:USER_SGPR: 8
; COMPUTE_PGM_RSRC2:TRAP_HANDLER: 0
; COMPUTE_PGM_RSRC2:TGID_X_EN: 1
; COMPUTE_PGM_RSRC2:TGID_Y_EN: 0
; COMPUTE_PGM_RSRC2:TGID_Z_EN: 0
; COMPUTE_PGM_RSRC2:TIDIG_COMP_CNT: 0
; COMPUTE_PGM_RSRC3_GFX90A:ACCUM_OFFSET: 16
; COMPUTE_PGM_RSRC3_GFX90A:TG_SPLIT: 0
	.section	.text._ZN2at6native27unrolled_elementwise_kernelIZZZNS0_12_GLOBAL__N_121bessel_j0_kernel_cudaERNS_18TensorIteratorBaseEENKUlvE_clEvENKUlvE_clEvEUldE_St5arrayIPcLm2EELi4E23TrivialOffsetCalculatorILi1EjESC_NS0_6memory15LoadWithoutCastENSD_16StoreWithoutCastEEEviT_T0_T2_T3_T4_T5_,"axG",@progbits,_ZN2at6native27unrolled_elementwise_kernelIZZZNS0_12_GLOBAL__N_121bessel_j0_kernel_cudaERNS_18TensorIteratorBaseEENKUlvE_clEvENKUlvE_clEvEUldE_St5arrayIPcLm2EELi4E23TrivialOffsetCalculatorILi1EjESC_NS0_6memory15LoadWithoutCastENSD_16StoreWithoutCastEEEviT_T0_T2_T3_T4_T5_,comdat
	.globl	_ZN2at6native27unrolled_elementwise_kernelIZZZNS0_12_GLOBAL__N_121bessel_j0_kernel_cudaERNS_18TensorIteratorBaseEENKUlvE_clEvENKUlvE_clEvEUldE_St5arrayIPcLm2EELi4E23TrivialOffsetCalculatorILi1EjESC_NS0_6memory15LoadWithoutCastENSD_16StoreWithoutCastEEEviT_T0_T2_T3_T4_T5_ ; -- Begin function _ZN2at6native27unrolled_elementwise_kernelIZZZNS0_12_GLOBAL__N_121bessel_j0_kernel_cudaERNS_18TensorIteratorBaseEENKUlvE_clEvENKUlvE_clEvEUldE_St5arrayIPcLm2EELi4E23TrivialOffsetCalculatorILi1EjESC_NS0_6memory15LoadWithoutCastENSD_16StoreWithoutCastEEEviT_T0_T2_T3_T4_T5_
	.p2align	8
	.type	_ZN2at6native27unrolled_elementwise_kernelIZZZNS0_12_GLOBAL__N_121bessel_j0_kernel_cudaERNS_18TensorIteratorBaseEENKUlvE_clEvENKUlvE_clEvEUldE_St5arrayIPcLm2EELi4E23TrivialOffsetCalculatorILi1EjESC_NS0_6memory15LoadWithoutCastENSD_16StoreWithoutCastEEEviT_T0_T2_T3_T4_T5_,@function
_ZN2at6native27unrolled_elementwise_kernelIZZZNS0_12_GLOBAL__N_121bessel_j0_kernel_cudaERNS_18TensorIteratorBaseEENKUlvE_clEvENKUlvE_clEvEUldE_St5arrayIPcLm2EELi4E23TrivialOffsetCalculatorILi1EjESC_NS0_6memory15LoadWithoutCastENSD_16StoreWithoutCastEEEviT_T0_T2_T3_T4_T5_: ; @_ZN2at6native27unrolled_elementwise_kernelIZZZNS0_12_GLOBAL__N_121bessel_j0_kernel_cudaERNS_18TensorIteratorBaseEENKUlvE_clEvENKUlvE_clEvEUldE_St5arrayIPcLm2EELi4E23TrivialOffsetCalculatorILi1EjESC_NS0_6memory15LoadWithoutCastENSD_16StoreWithoutCastEEEviT_T0_T2_T3_T4_T5_
; %bb.0:
	s_add_u32 flat_scratch_lo, s6, s9
	s_load_dword s6, s[4:5], 0x0
	s_load_dwordx4 s[16:19], s[4:5], 0x8
	s_addc_u32 flat_scratch_hi, s7, 0
	s_add_u32 s0, s0, s9
	s_addc_u32 s1, s1, 0
	s_lshl_b32 s4, s8, 10
	s_waitcnt lgkmcnt(0)
	s_sub_i32 s6, s6, s4
	s_mov_b32 s12, s8
	v_mov_b32_e32 v31, v0
	v_mov_b32_e32 v0, s16
	;; [unrolled: 1-line block ×6, first 2 shown]
	s_mov_b32 s32, 0
	s_getpc_b64 s[4:5]
	s_add_u32 s4, s4, _ZN2at6native25elementwise_kernel_helperILb0EZZZNS0_12_GLOBAL__N_121bessel_j0_kernel_cudaERNS_18TensorIteratorBaseEENKUlvE_clEvENKUlvE_clEvEUldE_NS0_6memory8policies11unroll_baseILi256ESt5arrayIPcLm2EE23TrivialOffsetCalculatorILi1EjESF_NS8_15LoadWithoutCastENS8_16StoreWithoutCastELi4ELi1EEEEEvT0_T1_@rel32@lo+4
	s_addc_u32 s5, s5, _ZN2at6native25elementwise_kernel_helperILb0EZZZNS0_12_GLOBAL__N_121bessel_j0_kernel_cudaERNS_18TensorIteratorBaseEENKUlvE_clEvENKUlvE_clEvEUldE_NS0_6memory8policies11unroll_baseILi256ESt5arrayIPcLm2EE23TrivialOffsetCalculatorILi1EjESF_NS8_15LoadWithoutCastENS8_16StoreWithoutCastELi4ELi1EEEEEvT0_T1_@rel32@hi+12
	s_swappc_b64 s[30:31], s[4:5]
	s_endpgm
	.section	.rodata,"a",@progbits
	.p2align	6, 0x0
	.amdhsa_kernel _ZN2at6native27unrolled_elementwise_kernelIZZZNS0_12_GLOBAL__N_121bessel_j0_kernel_cudaERNS_18TensorIteratorBaseEENKUlvE_clEvENKUlvE_clEvEUldE_St5arrayIPcLm2EELi4E23TrivialOffsetCalculatorILi1EjESC_NS0_6memory15LoadWithoutCastENSD_16StoreWithoutCastEEEviT_T0_T2_T3_T4_T5_
		.amdhsa_group_segment_fixed_size 0
		.amdhsa_private_segment_fixed_size 8
		.amdhsa_kernarg_size 28
		.amdhsa_user_sgpr_count 8
		.amdhsa_user_sgpr_private_segment_buffer 1
		.amdhsa_user_sgpr_dispatch_ptr 0
		.amdhsa_user_sgpr_queue_ptr 0
		.amdhsa_user_sgpr_kernarg_segment_ptr 1
		.amdhsa_user_sgpr_dispatch_id 0
		.amdhsa_user_sgpr_flat_scratch_init 1
		.amdhsa_user_sgpr_kernarg_preload_length 0
		.amdhsa_user_sgpr_kernarg_preload_offset 0
		.amdhsa_user_sgpr_private_segment_size 0
		.amdhsa_uses_dynamic_stack 0
		.amdhsa_system_sgpr_private_segment_wavefront_offset 1
		.amdhsa_system_sgpr_workgroup_id_x 1
		.amdhsa_system_sgpr_workgroup_id_y 0
		.amdhsa_system_sgpr_workgroup_id_z 0
		.amdhsa_system_sgpr_workgroup_info 0
		.amdhsa_system_vgpr_workitem_id 0
		.amdhsa_next_free_vgpr 68
		.amdhsa_next_free_sgpr 40
		.amdhsa_accum_offset 68
		.amdhsa_reserve_vcc 1
		.amdhsa_reserve_flat_scratch 1
		.amdhsa_float_round_mode_32 0
		.amdhsa_float_round_mode_16_64 0
		.amdhsa_float_denorm_mode_32 3
		.amdhsa_float_denorm_mode_16_64 3
		.amdhsa_dx10_clamp 1
		.amdhsa_ieee_mode 1
		.amdhsa_fp16_overflow 0
		.amdhsa_tg_split 0
		.amdhsa_exception_fp_ieee_invalid_op 0
		.amdhsa_exception_fp_denorm_src 0
		.amdhsa_exception_fp_ieee_div_zero 0
		.amdhsa_exception_fp_ieee_overflow 0
		.amdhsa_exception_fp_ieee_underflow 0
		.amdhsa_exception_fp_ieee_inexact 0
		.amdhsa_exception_int_div_zero 0
	.end_amdhsa_kernel
	.section	.text._ZN2at6native27unrolled_elementwise_kernelIZZZNS0_12_GLOBAL__N_121bessel_j0_kernel_cudaERNS_18TensorIteratorBaseEENKUlvE_clEvENKUlvE_clEvEUldE_St5arrayIPcLm2EELi4E23TrivialOffsetCalculatorILi1EjESC_NS0_6memory15LoadWithoutCastENSD_16StoreWithoutCastEEEviT_T0_T2_T3_T4_T5_,"axG",@progbits,_ZN2at6native27unrolled_elementwise_kernelIZZZNS0_12_GLOBAL__N_121bessel_j0_kernel_cudaERNS_18TensorIteratorBaseEENKUlvE_clEvENKUlvE_clEvEUldE_St5arrayIPcLm2EELi4E23TrivialOffsetCalculatorILi1EjESC_NS0_6memory15LoadWithoutCastENSD_16StoreWithoutCastEEEviT_T0_T2_T3_T4_T5_,comdat
.Lfunc_end6:
	.size	_ZN2at6native27unrolled_elementwise_kernelIZZZNS0_12_GLOBAL__N_121bessel_j0_kernel_cudaERNS_18TensorIteratorBaseEENKUlvE_clEvENKUlvE_clEvEUldE_St5arrayIPcLm2EELi4E23TrivialOffsetCalculatorILi1EjESC_NS0_6memory15LoadWithoutCastENSD_16StoreWithoutCastEEEviT_T0_T2_T3_T4_T5_, .Lfunc_end6-_ZN2at6native27unrolled_elementwise_kernelIZZZNS0_12_GLOBAL__N_121bessel_j0_kernel_cudaERNS_18TensorIteratorBaseEENKUlvE_clEvENKUlvE_clEvEUldE_St5arrayIPcLm2EELi4E23TrivialOffsetCalculatorILi1EjESC_NS0_6memory15LoadWithoutCastENSD_16StoreWithoutCastEEEviT_T0_T2_T3_T4_T5_
                                        ; -- End function
	.section	.AMDGPU.csdata,"",@progbits
; Kernel info:
; codeLenInByte = 104
; NumSgprs: 46
; NumVgprs: 68
; NumAgprs: 0
; TotalNumVgprs: 68
; ScratchSize: 8
; MemoryBound: 0
; FloatMode: 240
; IeeeMode: 1
; LDSByteSize: 0 bytes/workgroup (compile time only)
; SGPRBlocks: 5
; VGPRBlocks: 8
; NumSGPRsForWavesPerEU: 46
; NumVGPRsForWavesPerEU: 68
; AccumOffset: 68
; Occupancy: 7
; WaveLimiterHint : 0
; COMPUTE_PGM_RSRC2:SCRATCH_EN: 1
; COMPUTE_PGM_RSRC2:USER_SGPR: 8
; COMPUTE_PGM_RSRC2:TRAP_HANDLER: 0
; COMPUTE_PGM_RSRC2:TGID_X_EN: 1
; COMPUTE_PGM_RSRC2:TGID_Y_EN: 0
; COMPUTE_PGM_RSRC2:TGID_Z_EN: 0
; COMPUTE_PGM_RSRC2:TIDIG_COMP_CNT: 0
; COMPUTE_PGM_RSRC3_GFX90A:ACCUM_OFFSET: 16
; COMPUTE_PGM_RSRC3_GFX90A:TG_SPLIT: 0
	.section	.text._ZN2at6native32elementwise_kernel_manual_unrollILi128ELi4EZNS0_22gpu_kernel_impl_nocastIZZZNS0_12_GLOBAL__N_121bessel_j0_kernel_cudaERNS_18TensorIteratorBaseEENKUlvE_clEvENKUlvE_clEvEUldE_EEvS5_RKT_EUlibE_EEviT1_,"axG",@progbits,_ZN2at6native32elementwise_kernel_manual_unrollILi128ELi4EZNS0_22gpu_kernel_impl_nocastIZZZNS0_12_GLOBAL__N_121bessel_j0_kernel_cudaERNS_18TensorIteratorBaseEENKUlvE_clEvENKUlvE_clEvEUldE_EEvS5_RKT_EUlibE_EEviT1_,comdat
	.globl	_ZN2at6native32elementwise_kernel_manual_unrollILi128ELi4EZNS0_22gpu_kernel_impl_nocastIZZZNS0_12_GLOBAL__N_121bessel_j0_kernel_cudaERNS_18TensorIteratorBaseEENKUlvE_clEvENKUlvE_clEvEUldE_EEvS5_RKT_EUlibE_EEviT1_ ; -- Begin function _ZN2at6native32elementwise_kernel_manual_unrollILi128ELi4EZNS0_22gpu_kernel_impl_nocastIZZZNS0_12_GLOBAL__N_121bessel_j0_kernel_cudaERNS_18TensorIteratorBaseEENKUlvE_clEvENKUlvE_clEvEUldE_EEvS5_RKT_EUlibE_EEviT1_
	.p2align	8
	.type	_ZN2at6native32elementwise_kernel_manual_unrollILi128ELi4EZNS0_22gpu_kernel_impl_nocastIZZZNS0_12_GLOBAL__N_121bessel_j0_kernel_cudaERNS_18TensorIteratorBaseEENKUlvE_clEvENKUlvE_clEvEUldE_EEvS5_RKT_EUlibE_EEviT1_,@function
_ZN2at6native32elementwise_kernel_manual_unrollILi128ELi4EZNS0_22gpu_kernel_impl_nocastIZZZNS0_12_GLOBAL__N_121bessel_j0_kernel_cudaERNS_18TensorIteratorBaseEENKUlvE_clEvENKUlvE_clEvEUldE_EEvS5_RKT_EUlibE_EEviT1_: ; @_ZN2at6native32elementwise_kernel_manual_unrollILi128ELi4EZNS0_22gpu_kernel_impl_nocastIZZZNS0_12_GLOBAL__N_121bessel_j0_kernel_cudaERNS_18TensorIteratorBaseEENKUlvE_clEvENKUlvE_clEvEUldE_EEvS5_RKT_EUlibE_EEviT1_
; %bb.0:
	s_load_dword s57, s[4:5], 0x0
	s_load_dword s33, s[4:5], 0x8
	s_or_b32 s4, s4, 8
	v_lshl_or_b32 v22, s6, 9, v0
	v_or_b32_e32 v9, 0x180, v22
	s_waitcnt lgkmcnt(0)
	v_cmp_le_i32_e32 vcc, s57, v9
	s_add_i32 s56, s33, -1
	s_cmp_gt_u32 s56, 1
	s_cselect_b64 s[6:7], -1, 0
	s_and_saveexec_b64 s[0:1], vcc
	s_xor_b64 s[34:35], exec, s[0:1]
	s_cbranch_execz .LBB7_8
; %bb.1:
	s_load_dwordx4 s[36:39], s[4:5], 0x4
	s_load_dwordx2 s[40:41], s[4:5], 0x14
	s_load_dwordx4 s[28:31], s[4:5], 0xc4
	s_load_dwordx4 s[24:27], s[4:5], 0x148
	s_cmp_lg_u32 s33, 0
	s_cselect_b64 s[46:47], -1, 0
	s_add_u32 s44, s4, 0xc4
	s_addc_u32 s45, s5, 0
	s_min_u32 s58, s56, 15
	s_cmp_gt_u32 s33, 1
	s_cselect_b64 s[42:43], -1, 0
	v_cmp_gt_i32_e32 vcc, s57, v22
	s_and_saveexec_b64 s[48:49], vcc
	s_cbranch_execz .LBB7_16
; %bb.2:
	s_andn2_b64 vcc, exec, s[6:7]
	s_cbranch_vccnz .LBB7_24
; %bb.3:
	s_mov_b32 s50, 0
	s_andn2_b64 vcc, exec, s[46:47]
	v_mov_b32_e32 v2, 0
	v_mov_b32_e32 v0, 0
	s_cbranch_vccnz .LBB7_144
; %bb.4:
	s_add_i32 s59, s58, 1
	s_cmp_eq_u32 s56, 2
	s_cbranch_scc1 .LBB7_139
; %bb.5:
	s_and_b32 s50, s59, 28
	s_mov_b32 s51, 0
	v_mov_b32_e32 v0, 0
	s_mov_b64 s[52:53], s[4:5]
	s_mov_b64 s[54:55], s[44:45]
	v_mov_b32_e32 v3, v22
	v_mov_b32_e32 v2, 0
.LBB7_6:                                ; =>This Inner Loop Header: Depth=1
	s_load_dwordx8 s[16:23], s[52:53], 0x4
	s_load_dwordx4 s[0:3], s[52:53], 0x24
	s_load_dwordx8 s[8:15], s[54:55], 0x0
	s_add_u32 s52, s52, 48
	s_addc_u32 s53, s53, 0
	s_waitcnt lgkmcnt(0)
	v_mul_hi_u32 v1, s17, v3
	v_add_u32_e32 v1, v3, v1
	v_lshrrev_b32_e32 v1, s18, v1
	v_mul_lo_u32 v4, v1, s16
	v_mul_hi_u32 v5, s20, v1
	v_sub_u32_e32 v3, v3, v4
	v_add_u32_e32 v4, v1, v5
	v_lshrrev_b32_e32 v4, s21, v4
	v_mul_lo_u32 v6, v4, s19
	v_mul_hi_u32 v7, s23, v4
	v_sub_u32_e32 v1, v1, v6
	v_add_u32_e32 v6, v4, v7
	v_mul_lo_u32 v5, v3, s9
	v_mul_lo_u32 v3, v3, s8
	;; [unrolled: 1-line block ×4, first 2 shown]
	v_lshrrev_b32_e32 v6, s0, v6
	v_add3_u32 v0, v3, v0, v1
	v_mul_hi_u32 v3, s2, v6
	v_add_u32_e32 v3, v6, v3
	v_lshrrev_b32_e32 v3, s3, v3
	s_add_i32 s51, s51, 4
	v_add3_u32 v1, v5, v2, v7
	v_mul_lo_u32 v2, v6, s22
	v_mul_lo_u32 v5, v3, s1
	s_add_u32 s54, s54, 32
	v_sub_u32_e32 v2, v4, v2
	v_sub_u32_e32 v5, v6, v5
	s_addc_u32 s55, s55, 0
	v_mul_lo_u32 v4, v2, s12
	v_mul_lo_u32 v2, v2, s13
	v_mul_lo_u32 v6, v5, s14
	v_mul_lo_u32 v5, v5, s15
	s_cmp_lg_u32 s50, s51
	v_add3_u32 v2, v2, v1, v5
	v_add3_u32 v0, v4, v0, v6
	s_cbranch_scc1 .LBB7_6
; %bb.7:
	v_mov_b32_e32 v1, v2
	s_branch .LBB7_140
.LBB7_8:
	s_andn2_saveexec_b64 s[0:1], s[34:35]
	s_cbranch_execz .LBB7_199
.LBB7_9:
	v_cndmask_b32_e64 v0, 0, 1, s[6:7]
	v_cmp_ne_u32_e64 s[0:1], 1, v0
	s_andn2_b64 vcc, exec, s[6:7]
	s_cbranch_vccnz .LBB7_23
; %bb.10:
	s_mov_b32 s2, 0
	s_cmp_lg_u32 s33, 0
	v_mov_b32_e32 v10, 0
	v_mov_b32_e32 v0, 0
	s_cbranch_scc0 .LBB7_15
; %bb.11:
	s_waitcnt lgkmcnt(0)
	s_min_u32 s30, s56, 15
	s_add_i32 s30, s30, 1
	s_cmp_eq_u32 s56, 2
	s_cbranch_scc1 .LBB7_26
; %bb.12:
	s_add_u32 s6, s4, 0xc4
	s_addc_u32 s7, s5, 0
	s_and_b32 s2, s30, 28
	s_mov_b32 s3, 0
	v_mov_b32_e32 v0, 0
	s_mov_b64 s[28:29], s[4:5]
	v_mov_b32_e32 v2, v22
	v_mov_b32_e32 v10, 0
.LBB7_13:                               ; =>This Inner Loop Header: Depth=1
	s_load_dwordx8 s[16:23], s[28:29], 0x4
	s_load_dwordx4 s[24:27], s[28:29], 0x24
	s_load_dwordx8 s[8:15], s[6:7], 0x0
	s_add_u32 s28, s28, 48
	s_addc_u32 s29, s29, 0
	s_waitcnt lgkmcnt(0)
	v_mul_hi_u32 v1, s17, v2
	v_add_u32_e32 v1, v2, v1
	v_lshrrev_b32_e32 v1, s18, v1
	v_mul_lo_u32 v3, v1, s16
	v_mul_hi_u32 v4, s20, v1
	v_sub_u32_e32 v2, v2, v3
	v_add_u32_e32 v3, v1, v4
	v_lshrrev_b32_e32 v3, s21, v3
	v_mul_lo_u32 v5, v3, s19
	v_mul_hi_u32 v6, s23, v3
	v_sub_u32_e32 v1, v1, v5
	v_add_u32_e32 v5, v3, v6
	v_mul_lo_u32 v4, v2, s9
	v_mul_lo_u32 v2, v2, s8
	;; [unrolled: 1-line block ×4, first 2 shown]
	v_lshrrev_b32_e32 v5, s24, v5
	v_add3_u32 v0, v2, v0, v1
	v_add3_u32 v1, v4, v10, v6
	v_mul_lo_u32 v2, v5, s22
	v_mul_hi_u32 v4, s26, v5
	v_sub_u32_e32 v2, v3, v2
	v_add_u32_e32 v3, v5, v4
	v_mul_lo_u32 v4, v2, s12
	v_mul_lo_u32 v6, v2, s13
	v_lshrrev_b32_e32 v2, s27, v3
	s_add_i32 s3, s3, 4
	v_mul_lo_u32 v3, v2, s25
	s_add_u32 s6, s6, 32
	v_sub_u32_e32 v3, v5, v3
	s_addc_u32 s7, s7, 0
	v_mul_lo_u32 v5, v3, s14
	v_mul_lo_u32 v3, v3, s15
	s_cmp_lg_u32 s2, s3
	v_add3_u32 v10, v6, v1, v3
	v_add3_u32 v0, v4, v0, v5
	s_cbranch_scc1 .LBB7_13
; %bb.14:
	v_mov_b32_e32 v1, v10
	s_and_b32 s8, s30, 3
	s_cmp_eq_u32 s8, 0
	s_cbranch_scc0 .LBB7_27
.LBB7_15:
	s_cbranch_execz .LBB7_30
	s_branch .LBB7_32
.LBB7_16:
	s_or_b64 exec, exec, s[48:49]
	v_cmp_gt_i32_e32 vcc, s57, v22
	s_and_saveexec_b64 s[48:49], vcc
	s_cbranch_execz .LBB7_164
.LBB7_17:
	s_andn2_b64 vcc, exec, s[6:7]
	s_cbranch_vccnz .LBB7_25
; %bb.18:
	s_mov_b32 s50, 0
	s_andn2_b64 vcc, exec, s[46:47]
	v_mov_b32_e32 v2, 0
	v_mov_b32_e32 v0, 0
	s_cbranch_vccnz .LBB7_177
; %bb.19:
	s_add_i32 s59, s58, 1
	s_cmp_eq_u32 s56, 2
	s_cbranch_scc1 .LBB7_172
; %bb.20:
	s_and_b32 s50, s59, 28
	s_mov_b32 s51, 0
	v_mov_b32_e32 v0, 0
	s_mov_b64 s[52:53], s[4:5]
	s_mov_b64 s[54:55], s[44:45]
	v_mov_b32_e32 v3, v22
	v_mov_b32_e32 v2, 0
.LBB7_21:                               ; =>This Inner Loop Header: Depth=1
	s_load_dwordx8 s[16:23], s[52:53], 0x4
	s_load_dwordx4 s[0:3], s[52:53], 0x24
	s_load_dwordx8 s[8:15], s[54:55], 0x0
	s_add_u32 s52, s52, 48
	s_addc_u32 s53, s53, 0
	s_waitcnt lgkmcnt(0)
	v_mul_hi_u32 v1, s17, v3
	v_add_u32_e32 v1, v3, v1
	v_lshrrev_b32_e32 v1, s18, v1
	v_mul_lo_u32 v4, v1, s16
	v_mul_hi_u32 v5, s20, v1
	v_sub_u32_e32 v3, v3, v4
	v_add_u32_e32 v4, v1, v5
	v_lshrrev_b32_e32 v4, s21, v4
	v_mul_lo_u32 v6, v4, s19
	v_mul_hi_u32 v7, s23, v4
	v_sub_u32_e32 v1, v1, v6
	v_add_u32_e32 v6, v4, v7
	v_mul_lo_u32 v5, v3, s9
	v_mul_lo_u32 v3, v3, s8
	;; [unrolled: 1-line block ×4, first 2 shown]
	v_lshrrev_b32_e32 v6, s0, v6
	v_add3_u32 v0, v3, v0, v1
	v_mul_hi_u32 v3, s2, v6
	v_add_u32_e32 v3, v6, v3
	v_lshrrev_b32_e32 v3, s3, v3
	s_add_i32 s51, s51, 4
	v_add3_u32 v1, v5, v2, v7
	v_mul_lo_u32 v2, v6, s22
	v_mul_lo_u32 v5, v3, s1
	s_add_u32 s54, s54, 32
	v_sub_u32_e32 v2, v4, v2
	v_sub_u32_e32 v5, v6, v5
	s_addc_u32 s55, s55, 0
	v_mul_lo_u32 v4, v2, s12
	v_mul_lo_u32 v2, v2, s13
	;; [unrolled: 1-line block ×4, first 2 shown]
	s_cmp_eq_u32 s50, s51
	v_add3_u32 v2, v2, v1, v5
	v_add3_u32 v0, v4, v0, v6
	s_cbranch_scc0 .LBB7_21
; %bb.22:
	v_mov_b32_e32 v1, v2
	s_branch .LBB7_173
.LBB7_23:
                                        ; implicit-def: $vgpr10
                                        ; implicit-def: $vgpr0
	s_branch .LBB7_30
.LBB7_24:
                                        ; implicit-def: $vgpr2
                                        ; implicit-def: $vgpr0
	s_branch .LBB7_145
.LBB7_25:
                                        ; implicit-def: $vgpr2
                                        ; implicit-def: $vgpr0
	s_branch .LBB7_178
.LBB7_26:
	s_mov_b32 s3, s2
	v_pk_mov_b32 v[0:1], s[2:3], s[2:3] op_sel:[0,1]
                                        ; implicit-def: $vgpr10
	v_mov_b32_e32 v2, v22
	s_and_b32 s8, s30, 3
	s_cmp_eq_u32 s8, 0
	s_cbranch_scc1 .LBB7_15
.LBB7_27:
	s_lshl_b32 s3, s2, 3
	s_add_u32 s3, s3, s4
	s_addc_u32 s7, 0, s5
	s_add_u32 s6, s3, 0xc4
	s_addc_u32 s7, s7, 0
	s_mul_i32 s2, s2, 12
	s_add_u32 s2, s4, s2
	s_addc_u32 s3, 0, s5
.LBB7_28:                               ; =>This Inner Loop Header: Depth=1
	s_load_dwordx2 s[10:11], s[2:3], 0x4
	s_load_dword s9, s[2:3], 0xc
	s_load_dwordx2 s[12:13], s[6:7], 0x0
	v_mov_b32_e32 v4, v1
	s_add_u32 s2, s2, 12
	s_waitcnt lgkmcnt(0)
	v_mul_hi_u32 v1, s11, v2
	v_add_u32_e32 v1, v2, v1
	v_lshrrev_b32_e32 v1, s9, v1
	s_addc_u32 s3, s3, 0
	v_mul_lo_u32 v3, v1, s10
	s_add_u32 s6, s6, 8
	v_sub_u32_e32 v3, v2, v3
	s_addc_u32 s7, s7, 0
	s_add_i32 s8, s8, -1
	v_mov_b32_e32 v2, v1
	v_mad_u64_u32 v[4:5], s[10:11], v3, s13, v[4:5]
	v_mad_u64_u32 v[0:1], s[10:11], v3, s12, v[0:1]
	s_cmp_lg_u32 s8, 0
	v_mov_b32_e32 v1, v4
	s_cbranch_scc1 .LBB7_28
; %bb.29:
	v_mov_b32_e32 v10, v1
	s_cbranch_execnz .LBB7_32
.LBB7_30:
	s_load_dwordx4 s[8:11], s[4:5], 0x4
	s_load_dwordx2 s[2:3], s[4:5], 0xc4
	s_cmp_lt_u32 s33, 2
	s_waitcnt lgkmcnt(0)
	v_mul_hi_u32 v0, s9, v22
	v_add_u32_e32 v0, v22, v0
	v_lshrrev_b32_e32 v1, s10, v0
	v_mul_lo_u32 v0, v1, s8
	v_sub_u32_e32 v0, v22, v0
	v_mul_lo_u32 v10, v0, s3
	v_mul_lo_u32 v0, v0, s2
	s_cbranch_scc1 .LBB7_32
; %bb.31:
	s_load_dwordx4 s[8:11], s[4:5], 0x10
	s_load_dwordx2 s[2:3], s[4:5], 0xcc
	s_waitcnt lgkmcnt(0)
	v_mul_hi_u32 v2, s9, v1
	v_add_u32_e32 v2, v1, v2
	v_lshrrev_b32_e32 v2, s10, v2
	v_mul_lo_u32 v2, v2, s8
	v_sub_u32_e32 v2, v1, v2
	v_mad_u64_u32 v[0:1], s[6:7], v2, s2, v[0:1]
	v_mad_u64_u32 v[10:11], s[2:3], v2, s3, v[10:11]
.LBB7_32:
	s_and_b64 vcc, exec, s[0:1]
	v_add_u32_e32 v1, 0x80, v22
	s_cbranch_vccnz .LBB7_39
; %bb.33:
	s_mov_b32 s2, 0
	s_cmp_lg_u32 s33, 0
	v_mov_b32_e32 v14, 0
	v_mov_b32_e32 v2, 0
	s_cbranch_scc0 .LBB7_38
; %bb.34:
	s_waitcnt lgkmcnt(0)
	s_min_u32 s30, s56, 15
	s_add_i32 s30, s30, 1
	s_cmp_eq_u32 s56, 2
	s_cbranch_scc1 .LBB7_40
; %bb.35:
	s_add_u32 s6, s4, 0xc4
	s_addc_u32 s7, s5, 0
	s_and_b32 s2, s30, 28
	s_mov_b32 s3, 0
	v_mov_b32_e32 v2, 0
	s_mov_b64 s[28:29], s[4:5]
	v_mov_b32_e32 v4, v1
	v_mov_b32_e32 v14, 0
.LBB7_36:                               ; =>This Inner Loop Header: Depth=1
	s_load_dwordx8 s[16:23], s[28:29], 0x4
	s_load_dwordx4 s[24:27], s[28:29], 0x24
	s_load_dwordx8 s[8:15], s[6:7], 0x0
	s_add_u32 s28, s28, 48
	s_addc_u32 s29, s29, 0
	s_waitcnt lgkmcnt(0)
	v_mul_hi_u32 v3, s17, v4
	v_add_u32_e32 v3, v4, v3
	v_lshrrev_b32_e32 v3, s18, v3
	v_mul_lo_u32 v5, v3, s16
	v_mul_hi_u32 v6, s20, v3
	v_sub_u32_e32 v4, v4, v5
	v_add_u32_e32 v5, v3, v6
	v_lshrrev_b32_e32 v5, s21, v5
	v_mul_lo_u32 v7, v5, s19
	v_mul_hi_u32 v8, s23, v5
	v_sub_u32_e32 v3, v3, v7
	v_add_u32_e32 v7, v5, v8
	v_mul_lo_u32 v6, v4, s9
	v_mul_lo_u32 v4, v4, s8
	;; [unrolled: 1-line block ×4, first 2 shown]
	v_lshrrev_b32_e32 v7, s24, v7
	v_add3_u32 v2, v4, v2, v3
	v_add3_u32 v3, v6, v14, v8
	v_mul_lo_u32 v4, v7, s22
	v_mul_hi_u32 v6, s26, v7
	v_sub_u32_e32 v4, v5, v4
	v_add_u32_e32 v5, v7, v6
	v_mul_lo_u32 v6, v4, s12
	v_mul_lo_u32 v8, v4, s13
	v_lshrrev_b32_e32 v4, s27, v5
	s_add_i32 s3, s3, 4
	v_mul_lo_u32 v5, v4, s25
	s_add_u32 s6, s6, 32
	v_sub_u32_e32 v5, v7, v5
	s_addc_u32 s7, s7, 0
	v_mul_lo_u32 v7, v5, s14
	v_mul_lo_u32 v5, v5, s15
	s_cmp_lg_u32 s2, s3
	v_add3_u32 v14, v8, v3, v5
	v_add3_u32 v2, v6, v2, v7
	s_cbranch_scc1 .LBB7_36
; %bb.37:
	v_mov_b32_e32 v3, v14
	s_and_b32 s8, s30, 3
	s_cmp_eq_u32 s8, 0
	s_cbranch_scc0 .LBB7_41
.LBB7_38:
	s_cbranch_execz .LBB7_44
	s_branch .LBB7_46
.LBB7_39:
                                        ; implicit-def: $vgpr14
                                        ; implicit-def: $vgpr2
	s_branch .LBB7_44
.LBB7_40:
	s_mov_b32 s3, s2
	v_pk_mov_b32 v[2:3], s[2:3], s[2:3] op_sel:[0,1]
                                        ; implicit-def: $vgpr14
	v_mov_b32_e32 v4, v1
	s_and_b32 s8, s30, 3
	s_cmp_eq_u32 s8, 0
	s_cbranch_scc1 .LBB7_38
.LBB7_41:
	s_lshl_b32 s3, s2, 3
	s_add_u32 s3, s3, s4
	s_addc_u32 s7, 0, s5
	s_add_u32 s6, s3, 0xc4
	s_addc_u32 s7, s7, 0
	s_mul_i32 s2, s2, 12
	s_add_u32 s2, s4, s2
	s_addc_u32 s3, 0, s5
.LBB7_42:                               ; =>This Inner Loop Header: Depth=1
	s_load_dwordx2 s[10:11], s[2:3], 0x4
	s_load_dword s9, s[2:3], 0xc
	s_load_dwordx2 s[12:13], s[6:7], 0x0
	v_mov_b32_e32 v6, v3
	s_add_u32 s2, s2, 12
	s_waitcnt lgkmcnt(0)
	v_mul_hi_u32 v3, s11, v4
	v_add_u32_e32 v3, v4, v3
	v_lshrrev_b32_e32 v3, s9, v3
	s_addc_u32 s3, s3, 0
	v_mul_lo_u32 v5, v3, s10
	s_add_u32 s6, s6, 8
	v_sub_u32_e32 v5, v4, v5
	s_addc_u32 s7, s7, 0
	s_add_i32 s8, s8, -1
	v_mov_b32_e32 v4, v3
	v_mad_u64_u32 v[6:7], s[10:11], v5, s13, v[6:7]
	v_mad_u64_u32 v[2:3], s[10:11], v5, s12, v[2:3]
	s_cmp_lg_u32 s8, 0
	v_mov_b32_e32 v3, v6
	s_cbranch_scc1 .LBB7_42
; %bb.43:
	v_mov_b32_e32 v14, v3
	s_cbranch_execnz .LBB7_46
.LBB7_44:
	s_load_dwordx4 s[8:11], s[4:5], 0x4
	s_load_dwordx2 s[2:3], s[4:5], 0xc4
	s_cmp_lt_u32 s33, 2
	s_waitcnt lgkmcnt(0)
	v_mul_hi_u32 v2, s9, v1
	v_add_u32_e32 v2, v1, v2
	v_lshrrev_b32_e32 v3, s10, v2
	v_mul_lo_u32 v2, v3, s8
	v_sub_u32_e32 v1, v1, v2
	v_mul_lo_u32 v14, v1, s3
	v_mul_lo_u32 v2, v1, s2
	s_cbranch_scc1 .LBB7_46
; %bb.45:
	s_load_dwordx4 s[8:11], s[4:5], 0x10
	s_load_dwordx2 s[2:3], s[4:5], 0xcc
	s_waitcnt lgkmcnt(0)
	v_mul_hi_u32 v1, s9, v3
	v_add_u32_e32 v1, v3, v1
	v_lshrrev_b32_e32 v1, s10, v1
	v_mul_lo_u32 v1, v1, s8
	v_sub_u32_e32 v1, v3, v1
	v_mad_u64_u32 v[2:3], s[6:7], v1, s2, v[2:3]
	v_mad_u64_u32 v[14:15], s[2:3], v1, s3, v[14:15]
.LBB7_46:
	s_and_b64 vcc, exec, s[0:1]
	v_add_u32_e32 v1, 0x100, v22
	s_cbranch_vccnz .LBB7_53
; %bb.47:
	s_mov_b32 s2, 0
	s_cmp_lg_u32 s33, 0
	v_mov_b32_e32 v12, 0
	v_mov_b32_e32 v4, 0
	s_cbranch_scc0 .LBB7_52
; %bb.48:
	s_waitcnt lgkmcnt(0)
	s_min_u32 s30, s56, 15
	s_add_i32 s30, s30, 1
	s_cmp_eq_u32 s56, 2
	s_cbranch_scc1 .LBB7_54
; %bb.49:
	s_add_u32 s6, s4, 0xc4
	s_addc_u32 s7, s5, 0
	s_and_b32 s2, s30, 28
	s_mov_b32 s3, 0
	v_mov_b32_e32 v4, 0
	s_mov_b64 s[28:29], s[4:5]
	v_mov_b32_e32 v3, v1
	v_mov_b32_e32 v12, 0
.LBB7_50:                               ; =>This Inner Loop Header: Depth=1
	s_load_dwordx8 s[16:23], s[28:29], 0x4
	s_load_dwordx4 s[24:27], s[28:29], 0x24
	s_load_dwordx8 s[8:15], s[6:7], 0x0
	s_add_u32 s28, s28, 48
	s_addc_u32 s29, s29, 0
	s_waitcnt lgkmcnt(0)
	v_mul_hi_u32 v5, s17, v3
	v_add_u32_e32 v5, v3, v5
	v_lshrrev_b32_e32 v5, s18, v5
	v_mul_lo_u32 v6, v5, s16
	v_mul_hi_u32 v7, s20, v5
	v_sub_u32_e32 v3, v3, v6
	v_add_u32_e32 v6, v5, v7
	v_lshrrev_b32_e32 v6, s21, v6
	v_mul_lo_u32 v8, v6, s19
	v_mul_hi_u32 v11, s23, v6
	v_sub_u32_e32 v5, v5, v8
	v_add_u32_e32 v8, v6, v11
	v_mul_lo_u32 v7, v3, s9
	v_mul_lo_u32 v3, v3, s8
	;; [unrolled: 1-line block ×4, first 2 shown]
	v_lshrrev_b32_e32 v8, s24, v8
	v_add3_u32 v4, v3, v4, v5
	v_add3_u32 v5, v7, v12, v11
	v_mul_lo_u32 v3, v8, s22
	v_mul_hi_u32 v7, s26, v8
	v_sub_u32_e32 v3, v6, v3
	v_add_u32_e32 v6, v8, v7
	v_mul_lo_u32 v7, v3, s12
	v_mul_lo_u32 v11, v3, s13
	v_lshrrev_b32_e32 v3, s27, v6
	s_add_i32 s3, s3, 4
	v_mul_lo_u32 v6, v3, s25
	s_add_u32 s6, s6, 32
	v_sub_u32_e32 v6, v8, v6
	s_addc_u32 s7, s7, 0
	v_mul_lo_u32 v8, v6, s14
	v_mul_lo_u32 v6, v6, s15
	s_cmp_lg_u32 s2, s3
	v_add3_u32 v12, v11, v5, v6
	v_add3_u32 v4, v7, v4, v8
	s_cbranch_scc1 .LBB7_50
; %bb.51:
	v_mov_b32_e32 v5, v12
	s_and_b32 s8, s30, 3
	s_cmp_eq_u32 s8, 0
	s_cbranch_scc0 .LBB7_55
.LBB7_52:
	s_cbranch_execz .LBB7_58
	s_branch .LBB7_60
.LBB7_53:
                                        ; implicit-def: $vgpr12
                                        ; implicit-def: $vgpr4
	s_branch .LBB7_58
.LBB7_54:
	s_mov_b32 s3, s2
	v_pk_mov_b32 v[4:5], s[2:3], s[2:3] op_sel:[0,1]
                                        ; implicit-def: $vgpr12
	v_mov_b32_e32 v3, v1
	s_and_b32 s8, s30, 3
	s_cmp_eq_u32 s8, 0
	s_cbranch_scc1 .LBB7_52
.LBB7_55:
	s_lshl_b32 s3, s2, 3
	s_add_u32 s3, s3, s4
	s_addc_u32 s7, 0, s5
	s_add_u32 s6, s3, 0xc4
	s_addc_u32 s7, s7, 0
	s_mul_i32 s2, s2, 12
	s_add_u32 s2, s4, s2
	s_addc_u32 s3, 0, s5
.LBB7_56:                               ; =>This Inner Loop Header: Depth=1
	s_load_dwordx2 s[10:11], s[2:3], 0x4
	s_load_dword s9, s[2:3], 0xc
	s_load_dwordx2 s[12:13], s[6:7], 0x0
	v_mov_b32_e32 v6, v5
	s_add_u32 s2, s2, 12
	s_waitcnt lgkmcnt(0)
	v_mul_hi_u32 v5, s11, v3
	v_add_u32_e32 v5, v3, v5
	v_lshrrev_b32_e32 v5, s9, v5
	s_addc_u32 s3, s3, 0
	v_mul_lo_u32 v7, v5, s10
	s_add_u32 s6, s6, 8
	v_sub_u32_e32 v8, v3, v7
	s_addc_u32 s7, s7, 0
	s_add_i32 s8, s8, -1
	v_mov_b32_e32 v3, v5
	v_mad_u64_u32 v[6:7], s[10:11], v8, s13, v[6:7]
	v_mad_u64_u32 v[4:5], s[10:11], v8, s12, v[4:5]
	s_cmp_lg_u32 s8, 0
	v_mov_b32_e32 v5, v6
	s_cbranch_scc1 .LBB7_56
; %bb.57:
	v_mov_b32_e32 v12, v5
	s_cbranch_execnz .LBB7_60
.LBB7_58:
	s_load_dwordx4 s[8:11], s[4:5], 0x4
	s_load_dwordx2 s[2:3], s[4:5], 0xc4
	s_cmp_lt_u32 s33, 2
	s_waitcnt lgkmcnt(0)
	v_mul_hi_u32 v3, s9, v1
	v_add_u32_e32 v3, v1, v3
	v_lshrrev_b32_e32 v3, s10, v3
	v_mul_lo_u32 v4, v3, s8
	v_sub_u32_e32 v1, v1, v4
	v_mul_lo_u32 v12, v1, s3
	v_mul_lo_u32 v4, v1, s2
	s_cbranch_scc1 .LBB7_60
; %bb.59:
	s_load_dwordx4 s[8:11], s[4:5], 0x10
	s_load_dwordx2 s[2:3], s[4:5], 0xcc
	s_waitcnt lgkmcnt(0)
	v_mul_hi_u32 v1, s9, v3
	v_add_u32_e32 v1, v3, v1
	v_lshrrev_b32_e32 v1, s10, v1
	v_mul_lo_u32 v1, v1, s8
	v_sub_u32_e32 v1, v3, v1
	v_mad_u64_u32 v[4:5], s[6:7], v1, s2, v[4:5]
	v_mad_u64_u32 v[12:13], s[2:3], v1, s3, v[12:13]
.LBB7_60:
	s_and_b64 vcc, exec, s[0:1]
	s_cbranch_vccnz .LBB7_67
; %bb.61:
	s_mov_b32 s6, 0
	s_cmp_lg_u32 s33, 0
	v_mov_b32_e32 v8, 0
	v_mov_b32_e32 v6, 0
	s_cbranch_scc0 .LBB7_66
; %bb.62:
	s_waitcnt lgkmcnt(0)
	s_min_u32 s28, s56, 15
	s_add_i32 s28, s28, 1
	s_cmp_eq_u32 s56, 2
	s_cbranch_scc1 .LBB7_68
; %bb.63:
	s_add_u32 s24, s4, 0xc4
	s_addc_u32 s25, s5, 0
	s_and_b32 s6, s28, 28
	s_mov_b32 s7, 0
	v_mov_b32_e32 v6, 0
	s_mov_b64 s[26:27], s[4:5]
	v_mov_b32_e32 v1, v9
	v_mov_b32_e32 v8, 0
.LBB7_64:                               ; =>This Inner Loop Header: Depth=1
	s_load_dwordx8 s[16:23], s[26:27], 0x4
	s_load_dwordx4 s[0:3], s[26:27], 0x24
	s_load_dwordx8 s[8:15], s[24:25], 0x0
	s_add_u32 s26, s26, 48
	s_addc_u32 s27, s27, 0
	s_waitcnt lgkmcnt(0)
	v_mul_hi_u32 v3, s17, v1
	v_add_u32_e32 v3, v1, v3
	v_lshrrev_b32_e32 v3, s18, v3
	v_mul_lo_u32 v5, v3, s16
	v_mul_hi_u32 v7, s20, v3
	v_sub_u32_e32 v1, v1, v5
	v_add_u32_e32 v5, v3, v7
	v_lshrrev_b32_e32 v5, s21, v5
	v_mul_lo_u32 v11, v5, s19
	v_mul_hi_u32 v13, s23, v5
	v_sub_u32_e32 v3, v3, v11
	v_add_u32_e32 v11, v5, v13
	v_mul_lo_u32 v7, v1, s9
	v_mul_lo_u32 v1, v1, s8
	;; [unrolled: 1-line block ×4, first 2 shown]
	v_lshrrev_b32_e32 v11, s0, v11
	v_add3_u32 v3, v1, v6, v3
	v_add3_u32 v6, v7, v8, v13
	v_mul_lo_u32 v1, v11, s22
	v_mul_hi_u32 v7, s2, v11
	v_sub_u32_e32 v1, v5, v1
	v_add_u32_e32 v5, v11, v7
	v_mul_lo_u32 v7, v1, s12
	v_mul_lo_u32 v8, v1, s13
	v_lshrrev_b32_e32 v1, s3, v5
	s_add_i32 s7, s7, 4
	v_mul_lo_u32 v5, v1, s1
	s_add_u32 s24, s24, 32
	v_sub_u32_e32 v5, v11, v5
	s_addc_u32 s25, s25, 0
	v_mul_lo_u32 v11, v5, s14
	v_mul_lo_u32 v5, v5, s15
	s_cmp_lg_u32 s6, s7
	v_add3_u32 v8, v8, v6, v5
	v_add3_u32 v6, v7, v3, v11
	s_cbranch_scc1 .LBB7_64
; %bb.65:
	v_mov_b32_e32 v7, v8
	s_and_b32 s7, s28, 3
	s_cmp_eq_u32 s7, 0
	s_cbranch_scc0 .LBB7_69
.LBB7_66:
	s_cbranch_execz .LBB7_72
	s_branch .LBB7_74
.LBB7_67:
                                        ; implicit-def: $vgpr8
                                        ; implicit-def: $vgpr6
	s_branch .LBB7_72
.LBB7_68:
	s_mov_b32 s7, s6
	v_pk_mov_b32 v[6:7], s[6:7], s[6:7] op_sel:[0,1]
                                        ; implicit-def: $vgpr8
	v_mov_b32_e32 v1, v9
	s_and_b32 s7, s28, 3
	s_cmp_eq_u32 s7, 0
	s_cbranch_scc1 .LBB7_66
.LBB7_69:
	s_lshl_b32 s0, s6, 3
	s_add_u32 s0, s0, s4
	s_addc_u32 s1, 0, s5
	s_add_u32 s0, s0, 0xc4
	s_addc_u32 s1, s1, 0
	s_mul_i32 s2, s6, 12
	s_add_u32 s2, s4, s2
	s_addc_u32 s3, 0, s5
.LBB7_70:                               ; =>This Inner Loop Header: Depth=1
	s_load_dwordx2 s[8:9], s[2:3], 0x4
	s_load_dword s6, s[2:3], 0xc
	s_load_dwordx2 s[10:11], s[0:1], 0x0
	s_add_u32 s2, s2, 12
	s_addc_u32 s3, s3, 0
	s_waitcnt lgkmcnt(0)
	v_mul_hi_u32 v3, s9, v1
	v_add_u32_e32 v3, v1, v3
	v_lshrrev_b32_e32 v3, s6, v3
	v_mul_lo_u32 v5, v3, s8
	v_mov_b32_e32 v8, v7
	s_add_u32 s0, s0, 8
	v_sub_u32_e32 v5, v1, v5
	s_addc_u32 s1, s1, 0
	s_add_i32 s7, s7, -1
	v_mad_u64_u32 v[16:17], s[8:9], v5, s11, v[8:9]
	v_mad_u64_u32 v[6:7], s[8:9], v5, s10, v[6:7]
	s_cmp_lg_u32 s7, 0
	v_mov_b32_e32 v1, v3
	v_mov_b32_e32 v7, v16
	s_cbranch_scc1 .LBB7_70
; %bb.71:
	v_mov_b32_e32 v8, v7
	s_cbranch_execnz .LBB7_74
.LBB7_72:
	s_load_dwordx4 s[0:3], s[4:5], 0x4
	s_load_dwordx2 s[6:7], s[4:5], 0xc4
	s_cmp_lt_u32 s33, 2
	s_waitcnt lgkmcnt(0)
	v_mul_hi_u32 v1, s1, v9
	v_add_u32_e32 v1, v9, v1
	v_lshrrev_b32_e32 v1, s2, v1
	v_mul_lo_u32 v3, v1, s0
	v_sub_u32_e32 v3, v9, v3
	v_mul_lo_u32 v8, v3, s7
	v_mul_lo_u32 v6, v3, s6
	s_cbranch_scc1 .LBB7_74
; %bb.73:
	s_load_dwordx4 s[0:3], s[4:5], 0x10
	s_load_dwordx2 s[6:7], s[4:5], 0xcc
	s_waitcnt lgkmcnt(0)
	v_mul_hi_u32 v3, s1, v1
	v_add_u32_e32 v3, v1, v3
	v_lshrrev_b32_e32 v3, s2, v3
	v_mul_lo_u32 v3, v3, s0
	v_sub_u32_e32 v1, v1, v3
	v_mad_u64_u32 v[6:7], s[0:1], v1, s6, v[6:7]
	v_mad_u64_u32 v[8:9], s[0:1], v1, s7, v[8:9]
.LBB7_74:
	s_load_dwordx4 s[4:7], s[4:5], 0x148
	s_mov_b32 s0, 0
	s_mov_b32 s1, 0x40140000
	s_waitcnt lgkmcnt(0)
	global_load_dwordx2 v[10:11], v10, s[6:7]
	s_waitcnt vmcnt(0)
	v_xor_b32_e32 v1, 0x80000000, v11
	v_cmp_gt_f64_e32 vcc, 0, v[10:11]
	v_cndmask_b32_e32 v17, v11, v1, vcc
	v_cndmask_b32_e32 v16, v10, v10, vcc
	v_cmp_ge_f64_e32 vcc, s[0:1], v[16:17]
                                        ; implicit-def: $vgpr10_vgpr11
	s_and_saveexec_b64 s[0:1], vcc
	s_xor_b64 s[0:1], exec, s[0:1]
	s_cbranch_execz .LBB7_80
; %bb.75:
	s_mov_b32 s2, 0x88e368f1
	s_mov_b32 s3, 0x3ee4f8b5
	v_cmp_ngt_f64_e32 vcc, s[2:3], v[16:17]
	v_mul_f64 v[16:17], v[16:17], v[16:17]
                                        ; implicit-def: $vgpr10_vgpr11
	s_and_saveexec_b64 s[2:3], vcc
	s_xor_b64 s[2:3], exec, s[2:3]
	s_cbranch_execz .LBB7_77
; %bb.76:
	v_mov_b32_e32 v10, 0xad1c8325
	v_mov_b32_e32 v11, 0xc1f1dc53
	v_fmac_f64_e32 v[10:11], 0, v[16:17]
	v_mov_b32_e32 v18, 0xc772990d
	v_mov_b32_e32 v19, 0x427c7751
	v_fmac_f64_e32 v[18:19], v[16:17], v[10:11]
	;; [unrolled: 3-line block ×10, first 2 shown]
	v_mov_b32_e32 v20, 0xc7b662cc
	v_mov_b32_e32 v21, 0x43b7be34
	s_mov_b32 s8, 0x80462bbb
	v_fmac_f64_e32 v[20:21], v[16:17], v[18:19]
	v_mov_b32_e32 v18, 0x69ff5fb4
	v_mov_b32_e32 v19, 0x43413ef8
	s_mov_b32 s9, 0xc01721fb
	v_fmac_f64_e32 v[18:19], v[16:17], v[10:11]
	v_add_f64 v[10:11], v[16:17], s[8:9]
	s_mov_b32 s8, 0xa621dd6f
	s_mov_b32 s9, 0xc03e78a4
	v_add_f64 v[16:17], v[16:17], s[8:9]
	v_mul_f64 v[10:11], v[10:11], v[16:17]
	v_mul_f64 v[10:11], v[10:11], v[18:19]
	v_div_scale_f64 v[16:17], s[8:9], v[20:21], v[20:21], v[10:11]
	v_rcp_f64_e32 v[18:19], v[16:17]
	v_fma_f64 v[22:23], -v[16:17], v[18:19], 1.0
	v_fmac_f64_e32 v[18:19], v[18:19], v[22:23]
	v_fma_f64 v[22:23], -v[16:17], v[18:19], 1.0
	v_fmac_f64_e32 v[18:19], v[18:19], v[22:23]
	v_div_scale_f64 v[22:23], vcc, v[10:11], v[20:21], v[10:11]
	v_mul_f64 v[24:25], v[22:23], v[18:19]
	v_fma_f64 v[16:17], -v[16:17], v[24:25], v[22:23]
	s_nop 1
	v_div_fmas_f64 v[16:17], v[16:17], v[18:19], v[24:25]
	v_div_fixup_f64 v[10:11], v[16:17], v[20:21], v[10:11]
                                        ; implicit-def: $vgpr16_vgpr17
.LBB7_77:
	s_andn2_saveexec_b64 s[2:3], s[2:3]
; %bb.78:
	s_mov_b32 s8, 0
	s_mov_b32 s9, 0xbfd00000
	v_fma_f64 v[10:11], v[16:17], s[8:9], 1.0
; %bb.79:
	s_or_b64 exec, exec, s[2:3]
                                        ; implicit-def: $vgpr16_vgpr17
.LBB7_80:
	s_andn2_saveexec_b64 s[2:3], s[0:1]
	s_cbranch_execz .LBB7_90
; %bb.81:
	s_mov_b32 s11, 0xbfe921fb
	s_mov_b32 s10, 0x54442d18
	;; [unrolled: 1-line block ×3, first 2 shown]
	v_add_f64 v[10:11], v[16:17], s[10:11]
	s_mov_b32 s1, 0x41d00000
	v_cmp_nlt_f64_e64 s[8:9], |v[10:11]|, s[0:1]
	v_trig_preop_f64 v[30:31], |v[10:11]|, 0
	v_trig_preop_f64 v[28:29], |v[10:11]|, 1
	;; [unrolled: 1-line block ×3, first 2 shown]
                                        ; implicit-def: $vgpr1
                                        ; implicit-def: $vgpr18_vgpr19
                                        ; implicit-def: $vgpr20_vgpr21
	s_and_saveexec_b64 s[0:1], s[8:9]
	s_xor_b64 s[12:13], exec, s[0:1]
	s_cbranch_execz .LBB7_83
; %bb.82:
	s_mov_b32 s0, 0
	s_mov_b32 s1, 0x7b000000
	s_movk_i32 s11, 0xff80
	v_and_b32_e32 v1, 0x7fffffff, v11
	v_ldexp_f64 v[18:19], |v[10:11]|, s11
	v_cmp_ge_f64_e64 vcc, |v[10:11]|, s[0:1]
	v_cndmask_b32_e32 v19, v1, v19, vcc
	v_cndmask_b32_e32 v18, v10, v18, vcc
	v_mul_f64 v[22:23], v[30:31], v[18:19]
	v_mul_f64 v[20:21], v[28:29], v[18:19]
	v_fma_f64 v[24:25], v[30:31], v[18:19], -v[22:23]
	v_add_f64 v[32:33], v[20:21], v[24:25]
	v_add_f64 v[34:35], v[22:23], v[32:33]
	s_mov_b32 s0, 0
	v_ldexp_f64 v[36:37], v[34:35], -2
	s_mov_b32 s1, 0x7ff00000
	v_fract_f64_e32 v[38:39], v[36:37]
	v_cmp_neq_f64_e64 vcc, |v[36:37]|, s[0:1]
	v_cndmask_b32_e32 v37, 0, v39, vcc
	v_cndmask_b32_e32 v36, 0, v38, vcc
	v_add_f64 v[38:39], v[32:33], -v[20:21]
	v_add_f64 v[24:25], v[24:25], -v[38:39]
	;; [unrolled: 1-line block ×4, first 2 shown]
	v_add_f64 v[24:25], v[24:25], v[38:39]
	v_fma_f64 v[20:21], v[28:29], v[18:19], -v[20:21]
	v_mul_f64 v[38:39], v[26:27], v[18:19]
	v_add_f64 v[42:43], v[38:39], v[20:21]
	v_add_f64 v[44:45], v[42:43], v[24:25]
	v_add_f64 v[22:23], v[34:35], -v[22:23]
	v_add_f64 v[34:35], v[44:45], -v[42:43]
	;; [unrolled: 1-line block ×5, first 2 shown]
	v_add_f64 v[24:25], v[24:25], v[34:35]
	v_add_f64 v[34:35], v[42:43], -v[38:39]
	v_add_f64 v[20:21], v[20:21], -v[34:35]
	;; [unrolled: 1-line block ×5, first 2 shown]
	v_add_f64 v[32:33], v[22:23], v[44:45]
	v_add_f64 v[20:21], v[20:21], v[34:35]
	v_add_f64 v[22:23], v[32:33], -v[22:23]
	v_add_f64 v[20:21], v[20:21], v[24:25]
	v_fma_f64 v[18:19], v[26:27], v[18:19], -v[38:39]
	v_add_f64 v[22:23], v[44:45], -v[22:23]
	v_add_f64 v[18:19], v[18:19], v[20:21]
	v_ldexp_f64 v[20:21], v[36:37], 2
	v_add_f64 v[18:19], v[22:23], v[18:19]
	v_add_f64 v[22:23], v[32:33], v[20:21]
	v_mov_b32_e32 v1, 0x40100000
	v_cmp_gt_f64_e32 vcc, 0, v[22:23]
	v_mov_b32_e32 v40, 0
	v_cndmask_b32_e32 v41, 0, v1, vcc
	v_add_f64 v[20:21], v[20:21], v[40:41]
	v_add_f64 v[22:23], v[32:33], v[20:21]
	v_cvt_i32_f64_e32 v1, v[22:23]
	v_cvt_f64_i32_e32 v[22:23], v1
	v_add_f64 v[20:21], v[20:21], -v[22:23]
	v_add_f64 v[22:23], v[32:33], v[20:21]
	v_add_f64 v[20:21], v[22:23], -v[20:21]
	v_cmp_le_f64_e32 vcc, 0.5, v[22:23]
	v_mov_b32_e32 v3, 0x3ff00000
	v_add_f64 v[20:21], v[32:33], -v[20:21]
	v_cndmask_b32_e32 v41, 0, v3, vcc
	v_add_f64 v[18:19], v[18:19], v[20:21]
	v_add_f64 v[20:21], v[22:23], -v[40:41]
	v_add_f64 v[22:23], v[20:21], v[18:19]
	v_addc_co_u32_e64 v1, s[0:1], 0, v1, vcc
	v_add_f64 v[20:21], v[22:23], -v[20:21]
	s_mov_b32 s11, 0x3ff921fb
	v_add_f64 v[18:19], v[18:19], -v[20:21]
	v_mul_f64 v[20:21], v[22:23], s[10:11]
	s_mov_b32 s0, 0x33145c07
	v_fma_f64 v[24:25], v[22:23], s[10:11], -v[20:21]
	s_mov_b32 s1, 0x3c91a626
	v_fmac_f64_e32 v[24:25], s[0:1], v[22:23]
	v_fmac_f64_e32 v[24:25], s[10:11], v[18:19]
	v_add_f64 v[18:19], v[20:21], v[24:25]
	v_add_f64 v[20:21], v[18:19], -v[20:21]
	v_add_f64 v[20:21], v[24:25], -v[20:21]
	s_andn2_saveexec_b64 s[0:1], s[12:13]
	s_cbranch_execz .LBB7_85
	s_branch .LBB7_84
.LBB7_83:
	s_andn2_saveexec_b64 s[0:1], s[12:13]
	s_cbranch_execz .LBB7_85
.LBB7_84:
	s_mov_b32 s10, 0x6dc9c883
	s_mov_b32 s11, 0x3fe45f30
	v_mul_f64 v[18:19], |v[10:11]|, s[10:11]
	s_mov_b32 s10, 0x54442d18
	v_rndne_f64_e32 v[22:23], v[18:19]
	s_mov_b32 s11, 0xbff921fb
	v_fma_f64 v[18:19], v[22:23], s[10:11], |v[10:11]|
	s_mov_b32 s11, 0xbc91a626
	s_mov_b32 s10, 0x33145c00
	v_mul_f64 v[24:25], v[22:23], s[10:11]
	v_add_f64 v[34:35], v[18:19], v[24:25]
	v_fma_f64 v[20:21], s[10:11], v[22:23], v[18:19]
	s_mov_b32 s11, 0x3c91a626
	v_add_f64 v[18:19], v[18:19], -v[34:35]
	v_fma_f64 v[32:33], s[10:11], v[22:23], v[24:25]
	v_add_f64 v[18:19], v[18:19], v[24:25]
	v_add_f64 v[24:25], v[34:35], -v[20:21]
	v_add_f64 v[18:19], v[24:25], v[18:19]
	s_mov_b32 s10, 0x252049c0
	v_add_f64 v[24:25], v[18:19], -v[32:33]
	s_mov_b32 s11, 0xb97b839a
	v_fmac_f64_e32 v[24:25], s[10:11], v[22:23]
	v_add_f64 v[18:19], v[20:21], v[24:25]
	v_add_f64 v[20:21], v[18:19], -v[20:21]
	v_add_f64 v[20:21], v[24:25], -v[20:21]
	v_cvt_i32_f64_e32 v1, v[22:23]
.LBB7_85:
	s_or_b64 exec, exec, s[0:1]
                                        ; implicit-def: $vgpr3
                                        ; implicit-def: $vgpr22_vgpr23
                                        ; implicit-def: $vgpr24_vgpr25
	s_and_saveexec_b64 s[0:1], s[8:9]
	s_xor_b64 s[8:9], exec, s[0:1]
	s_cbranch_execz .LBB7_87
; %bb.86:
	s_mov_b32 s0, 0
	s_mov_b32 s1, 0x7b000000
	s_movk_i32 s10, 0xff80
	v_and_b32_e32 v3, 0x7fffffff, v11
	v_ldexp_f64 v[22:23], |v[10:11]|, s10
	v_cmp_ge_f64_e64 vcc, |v[10:11]|, s[0:1]
	v_cndmask_b32_e32 v23, v3, v23, vcc
	v_cndmask_b32_e32 v22, v10, v22, vcc
	v_mul_f64 v[32:33], v[30:31], v[22:23]
	v_mul_f64 v[24:25], v[28:29], v[22:23]
	v_fma_f64 v[30:31], v[30:31], v[22:23], -v[32:33]
	v_add_f64 v[34:35], v[24:25], v[30:31]
	v_add_f64 v[36:37], v[32:33], v[34:35]
	s_mov_b32 s0, 0
	v_ldexp_f64 v[38:39], v[36:37], -2
	s_mov_b32 s1, 0x7ff00000
	v_fract_f64_e32 v[40:41], v[38:39]
	v_cmp_neq_f64_e64 vcc, |v[38:39]|, s[0:1]
	v_cndmask_b32_e32 v39, 0, v41, vcc
	v_cndmask_b32_e32 v38, 0, v40, vcc
	v_add_f64 v[40:41], v[34:35], -v[24:25]
	v_add_f64 v[30:31], v[30:31], -v[40:41]
	;; [unrolled: 1-line block ×4, first 2 shown]
	v_fma_f64 v[24:25], v[28:29], v[22:23], -v[24:25]
	v_mul_f64 v[28:29], v[26:27], v[22:23]
	v_add_f64 v[30:31], v[30:31], v[40:41]
	v_add_f64 v[40:41], v[28:29], v[24:25]
	;; [unrolled: 1-line block ×3, first 2 shown]
	v_add_f64 v[32:33], v[36:37], -v[32:33]
	v_add_f64 v[36:37], v[44:45], -v[40:41]
	;; [unrolled: 1-line block ×5, first 2 shown]
	v_add_f64 v[30:31], v[30:31], v[36:37]
	v_add_f64 v[36:37], v[40:41], -v[28:29]
	v_add_f64 v[24:25], v[24:25], -v[36:37]
	;; [unrolled: 1-line block ×4, first 2 shown]
	v_add_f64 v[24:25], v[24:25], v[36:37]
	v_add_f64 v[32:33], v[34:35], -v[32:33]
	v_add_f64 v[24:25], v[24:25], v[30:31]
	v_fma_f64 v[22:23], v[26:27], v[22:23], -v[28:29]
	v_add_f64 v[34:35], v[32:33], v[44:45]
	v_add_f64 v[22:23], v[22:23], v[24:25]
	v_ldexp_f64 v[24:25], v[38:39], 2
	v_add_f64 v[26:27], v[34:35], v[24:25]
	v_mov_b32_e32 v3, 0x40100000
	v_cmp_gt_f64_e32 vcc, 0, v[26:27]
	v_mov_b32_e32 v42, 0
	v_cndmask_b32_e32 v43, 0, v3, vcc
	v_add_f64 v[24:25], v[24:25], v[42:43]
	v_add_f64 v[26:27], v[34:35], v[24:25]
	v_cvt_i32_f64_e32 v3, v[26:27]
	v_cvt_f64_i32_e32 v[26:27], v3
	v_add_f64 v[24:25], v[24:25], -v[26:27]
	v_add_f64 v[32:33], v[34:35], -v[32:33]
	v_add_f64 v[26:27], v[34:35], v[24:25]
	v_add_f64 v[32:33], v[44:45], -v[32:33]
	v_add_f64 v[24:25], v[26:27], -v[24:25]
	v_cmp_le_f64_e32 vcc, 0.5, v[26:27]
	v_mov_b32_e32 v5, 0x3ff00000
	v_add_f64 v[22:23], v[32:33], v[22:23]
	v_add_f64 v[24:25], v[34:35], -v[24:25]
	v_cndmask_b32_e32 v43, 0, v5, vcc
	v_add_f64 v[22:23], v[22:23], v[24:25]
	v_addc_co_u32_e64 v3, s[0:1], 0, v3, vcc
	v_add_f64 v[24:25], v[26:27], -v[42:43]
	v_add_f64 v[26:27], v[24:25], v[22:23]
	s_mov_b32 s0, 0x54442d18
	v_add_f64 v[24:25], v[26:27], -v[24:25]
	s_mov_b32 s1, 0x3ff921fb
	v_add_f64 v[22:23], v[22:23], -v[24:25]
	v_mul_f64 v[24:25], v[26:27], s[0:1]
	s_mov_b32 s10, 0x33145c07
	v_fma_f64 v[28:29], v[26:27], s[0:1], -v[24:25]
	s_mov_b32 s11, 0x3c91a626
	v_fmac_f64_e32 v[28:29], s[10:11], v[26:27]
	v_fmac_f64_e32 v[28:29], s[0:1], v[22:23]
	v_add_f64 v[22:23], v[24:25], v[28:29]
	v_add_f64 v[24:25], v[22:23], -v[24:25]
	v_add_f64 v[24:25], v[28:29], -v[24:25]
	s_andn2_saveexec_b64 s[0:1], s[8:9]
	s_cbranch_execnz .LBB7_88
	s_branch .LBB7_89
.LBB7_87:
	s_andn2_saveexec_b64 s[0:1], s[8:9]
	s_cbranch_execz .LBB7_89
.LBB7_88:
	s_mov_b32 s8, 0x6dc9c883
	s_mov_b32 s9, 0x3fe45f30
	v_mul_f64 v[22:23], |v[10:11]|, s[8:9]
	s_mov_b32 s8, 0x54442d18
	v_rndne_f64_e32 v[26:27], v[22:23]
	s_mov_b32 s9, 0xbff921fb
	v_fma_f64 v[22:23], v[26:27], s[8:9], |v[10:11]|
	s_mov_b32 s9, 0xbc91a626
	s_mov_b32 s8, 0x33145c00
	v_mul_f64 v[28:29], v[26:27], s[8:9]
	v_add_f64 v[32:33], v[22:23], v[28:29]
	v_fma_f64 v[24:25], s[8:9], v[26:27], v[22:23]
	s_mov_b32 s9, 0x3c91a626
	v_add_f64 v[22:23], v[22:23], -v[32:33]
	v_fma_f64 v[30:31], s[8:9], v[26:27], v[28:29]
	v_add_f64 v[22:23], v[22:23], v[28:29]
	v_add_f64 v[28:29], v[32:33], -v[24:25]
	v_add_f64 v[22:23], v[28:29], v[22:23]
	s_mov_b32 s8, 0x252049c0
	v_add_f64 v[28:29], v[22:23], -v[30:31]
	s_mov_b32 s9, 0xb97b839a
	v_fmac_f64_e32 v[28:29], s[8:9], v[26:27]
	v_add_f64 v[22:23], v[24:25], v[28:29]
	v_add_f64 v[24:25], v[22:23], -v[24:25]
	v_add_f64 v[24:25], v[28:29], -v[24:25]
	v_cvt_i32_f64_e32 v3, v[26:27]
.LBB7_89:
	s_or_b64 exec, exec, s[0:1]
	s_mov_b32 s0, 0
	v_mul_f64 v[26:27], v[16:17], v[16:17]
	s_mov_b32 s1, 0x40390000
	v_div_scale_f64 v[28:29], s[8:9], v[26:27], v[26:27], s[0:1]
	v_rcp_f64_e32 v[30:31], v[28:29]
	v_mov_b32_e32 v36, 0x55b218cd
	v_mov_b32_e32 v37, 0xc049b48c
	s_mov_b32 s8, 0x46cc5e42
	v_fma_f64 v[32:33], -v[28:29], v[30:31], 1.0
	v_fmac_f64_e32 v[30:31], v[30:31], v[32:33]
	v_fma_f64 v[32:33], -v[28:29], v[30:31], 1.0
	v_fmac_f64_e32 v[30:31], v[30:31], v[32:33]
	v_div_scale_f64 v[32:33], vcc, s[0:1], v[26:27], s[0:1]
	v_mul_f64 v[34:35], v[32:33], v[30:31]
	v_fma_f64 v[28:29], -v[28:29], v[34:35], v[32:33]
	v_mov_b32_e32 v32, 0xab5454e3
	s_nop 0
	v_div_fmas_f64 v[28:29], v[28:29], v[30:31], v[34:35]
	v_div_fixup_f64 v[28:29], v[28:29], v[26:27], s[0:1]
	v_mov_b32_e32 v26, 0x983b6b27
	v_mov_b32_e32 v27, 0x3f4a1d30
	v_fmac_f64_e32 v[26:27], 0, v[28:29]
	v_mov_b32_e32 v30, 0xb35dd1cf
	v_mov_b32_e32 v31, 0x3fb534b0
	v_fmac_f64_e32 v[30:31], v[28:29], v[26:27]
	;; [unrolled: 3-line block ×7, first 2 shown]
	v_mov_b32_e32 v33, 0x3fb5ebc5
	v_fmac_f64_e32 v[32:33], v[28:29], v[26:27]
	v_mov_b32_e32 v26, 0xc9b3069f
	v_mov_b32_e32 v27, 0x3ff40e72
	v_fmac_f64_e32 v[26:27], v[28:29], v[32:33]
	v_mov_b32_e32 v32, 0xe68162bb
	;; [unrolled: 3-line block ×10, first 2 shown]
	v_mov_b32_e32 v35, 0xc062627a
	v_fmac_f64_e32 v[34:35], v[28:29], v[26:27]
	v_fmac_f64_e32 v[36:37], v[28:29], v[34:35]
	v_mov_b32_e32 v26, 0xd1b9a1dd
	v_mov_b32_e32 v27, 0xc0183358
	;; [unrolled: 1-line block ×4, first 2 shown]
	v_fmac_f64_e32 v[26:27], v[28:29], v[36:37]
	v_fmac_f64_e32 v[34:35], 0, v[28:29]
	v_mov_b32_e32 v36, 0xb1759c7f
	v_mov_b32_e32 v37, 0x408ac370
	v_fmac_f64_e32 v[36:37], v[28:29], v[34:35]
	v_mov_b32_e32 v34, 0xbd748cb5
	v_mov_b32_e32 v35, 0x40ae54cd
	;; [unrolled: 3-line block ×5, first 2 shown]
	v_fma_f64 v[32:33], v[28:29], v[32:33], 1.0
	v_fmac_f64_e32 v[36:37], v[28:29], v[34:35]
	v_fma_f64 v[34:35], v[28:29], v[30:31], 1.0
	v_div_scale_f64 v[38:39], s[0:1], v[32:33], v[32:33], v[34:35]
	v_rcp_f64_e32 v[40:41], v[38:39]
	v_mov_b32_e32 v30, 0x6280a54
	v_mov_b32_e32 v31, 0x406e402f
	v_fmac_f64_e32 v[30:31], v[28:29], v[36:37]
	v_fma_f64 v[28:29], -v[38:39], v[40:41], 1.0
	v_fmac_f64_e32 v[40:41], v[40:41], v[28:29]
	v_fma_f64 v[28:29], -v[38:39], v[40:41], 1.0
	v_fmac_f64_e32 v[40:41], v[40:41], v[28:29]
	v_div_scale_f64 v[28:29], vcc, v[34:35], v[32:33], v[34:35]
	v_mul_f64 v[36:37], v[28:29], v[40:41]
	v_fma_f64 v[28:29], -v[38:39], v[36:37], v[28:29]
	s_mov_b32 s0, 0x9037ab78
	s_nop 0
	v_div_fmas_f64 v[28:29], v[28:29], v[40:41], v[36:37]
	v_div_fixup_f64 v[28:29], v[28:29], v[32:33], v[34:35]
	v_mul_f64 v[34:35], v[18:19], v[18:19]
	v_mul_f64 v[32:33], v[34:35], 0.5
	v_add_f64 v[36:37], -v[32:33], 1.0
	v_add_f64 v[38:39], -v[36:37], 1.0
	s_mov_b32 s1, 0x3e21eeb6
	v_add_f64 v[38:39], v[38:39], -v[32:33]
	s_mov_b32 s9, 0xbda907db
	v_pk_mov_b32 v[32:33], s[0:1], s[0:1] op_sel:[0,1]
	s_mov_b32 s10, 0xa17f65f6
	v_fma_f64 v[42:43], s[8:9], v[34:35], v[32:33]
	s_mov_b32 s11, 0xbe927e4f
	s_mov_b32 s12, 0x19f4ec90
	v_fma_f64 v[42:43], v[34:35], v[42:43], s[10:11]
	s_mov_b32 s13, 0x3efa01a0
	;; [unrolled: 3-line block ×4, first 2 shown]
	v_mul_f64 v[40:41], v[34:35], v[34:35]
	v_fma_f64 v[42:43], v[34:35], v[42:43], s[16:17]
	v_fma_f64 v[38:39], v[18:19], -v[20:21], v[38:39]
	s_mov_b32 s0, 0xb42fdfa7
	v_fmac_f64_e32 v[38:39], v[40:41], v[42:43]
	s_mov_b32 s1, 0xbe5ae600
	s_mov_b32 s18, 0xf9a43bb8
	v_add_f64 v[36:37], v[36:37], v[38:39]
	s_mov_b32 s19, 0x3de5e0b2
	v_pk_mov_b32 v[38:39], s[0:1], s[0:1] op_sel:[0,1]
	s_mov_b32 s20, 0x796cde01
	v_fma_f64 v[40:41], s[18:19], v[34:35], v[38:39]
	s_mov_b32 s21, 0x3ec71de3
	s_mov_b32 s22, 0x19e83e5c
	v_fma_f64 v[40:41], v[34:35], v[40:41], s[20:21]
	s_mov_b32 s23, 0xbf2a01a0
	;; [unrolled: 3-line block ×3, first 2 shown]
	v_fma_f64 v[40:41], v[34:35], v[40:41], s[24:25]
	v_mul_f64 v[42:43], v[18:19], -v[34:35]
	v_mul_f64 v[44:45], v[20:21], 0.5
	v_fmac_f64_e32 v[44:45], v[42:43], v[40:41]
	v_fma_f64 v[20:21], v[34:35], v[44:45], -v[20:21]
	s_mov_b32 s27, 0xbfc55555
	s_mov_b32 s26, s16
	v_fmac_f64_e32 v[20:21], s[26:27], v[42:43]
	v_and_b32_e32 v7, 1, v1
	s_mov_b32 s28, 0
	v_add_f64 v[18:19], v[18:19], -v[20:21]
	v_cmp_eq_u32_e32 vcc, 0, v7
	s_mov_b32 s29, 0xc0140000
	v_xor_b32_e32 v5, 0x80000000, v19
	v_cndmask_b32_e32 v7, v18, v36, vcc
	v_div_scale_f64 v[18:19], s[0:1], v[16:17], v[16:17], s[28:29]
	v_rcp_f64_e32 v[20:21], v[18:19]
	v_cndmask_b32_e32 v5, v5, v37, vcc
	s_movk_i32 s30, 0x1f8
	v_cmp_class_f64_e64 s[0:1], v[10:11], s30
	v_fma_f64 v[36:37], -v[18:19], v[20:21], 1.0
	v_fmac_f64_e32 v[20:21], v[20:21], v[36:37]
	v_fma_f64 v[36:37], -v[18:19], v[20:21], 1.0
	v_fmac_f64_e32 v[20:21], v[20:21], v[36:37]
	v_div_scale_f64 v[36:37], vcc, s[28:29], v[16:17], s[28:29]
	v_mul_f64 v[40:41], v[36:37], v[20:21]
	v_fma_f64 v[18:19], -v[18:19], v[40:41], v[36:37]
	v_div_scale_f64 v[36:37], s[30:31], v[30:31], v[30:31], v[26:27]
	v_rcp_f64_e32 v[42:43], v[36:37]
	v_div_fmas_f64 v[18:19], v[18:19], v[20:21], v[40:41]
	v_div_fixup_f64 v[18:19], v[18:19], v[16:17], s[28:29]
	v_lshlrev_b32_e32 v1, 30, v1
	v_fma_f64 v[20:21], -v[36:37], v[42:43], 1.0
	v_fmac_f64_e32 v[42:43], v[42:43], v[20:21]
	v_fma_f64 v[20:21], -v[36:37], v[42:43], 1.0
	v_fmac_f64_e32 v[42:43], v[42:43], v[20:21]
	v_div_scale_f64 v[20:21], vcc, v[26:27], v[30:31], v[26:27]
	v_mul_f64 v[40:41], v[20:21], v[42:43]
	v_fma_f64 v[20:21], -v[36:37], v[40:41], v[20:21]
	v_and_b32_e32 v1, 0x80000000, v1
	s_nop 0
	v_div_fmas_f64 v[20:21], v[20:21], v[42:43], v[40:41]
	v_div_fixup_f64 v[20:21], v[20:21], v[30:31], v[26:27]
	v_mul_f64 v[18:19], v[18:19], v[20:21]
	v_mul_f64 v[20:21], v[22:23], v[22:23]
	v_mul_f64 v[26:27], v[20:21], 0.5
	v_fmac_f64_e32 v[32:33], s[8:9], v[20:21]
	v_add_f64 v[30:31], -v[26:27], 1.0
	v_fma_f64 v[32:33], v[20:21], v[32:33], s[10:11]
	v_add_f64 v[36:37], -v[30:31], 1.0
	v_fma_f64 v[32:33], v[20:21], v[32:33], s[12:13]
	v_add_f64 v[26:27], v[36:37], -v[26:27]
	v_fma_f64 v[32:33], v[20:21], v[32:33], s[14:15]
	v_mul_f64 v[36:37], v[20:21], v[20:21]
	v_fma_f64 v[32:33], v[20:21], v[32:33], s[16:17]
	v_fma_f64 v[26:27], v[22:23], -v[24:25], v[26:27]
	v_fmac_f64_e32 v[26:27], v[36:37], v[32:33]
	v_fmac_f64_e32 v[38:39], s[18:19], v[20:21]
	v_add_f64 v[26:27], v[30:31], v[26:27]
	v_fma_f64 v[30:31], v[20:21], v[38:39], s[20:21]
	v_fma_f64 v[30:31], v[20:21], v[30:31], s[22:23]
	;; [unrolled: 1-line block ×3, first 2 shown]
	v_mul_f64 v[32:33], v[22:23], -v[20:21]
	v_mul_f64 v[36:37], v[24:25], 0.5
	v_fmac_f64_e32 v[36:37], v[32:33], v[30:31]
	v_xor_b32_e32 v1, v5, v1
	v_mov_b32_e32 v5, 0x7ff80000
	v_fma_f64 v[20:21], v[20:21], v[36:37], -v[24:25]
	v_cndmask_b32_e64 v35, v5, v1, s[0:1]
	v_fmac_f64_e32 v[20:21], s[26:27], v[32:33]
	v_and_b32_e32 v1, 1, v3
	v_lshlrev_b32_e32 v3, 30, v3
	v_add_f64 v[20:21], v[22:23], -v[20:21]
	v_cmp_eq_u32_e32 vcc, 0, v1
	v_xor_b32_e32 v3, v3, v11
	v_cndmask_b32_e64 v34, 0, v7, s[0:1]
	v_cndmask_b32_e32 v7, v27, v21, vcc
	v_and_b32_e32 v3, 0x80000000, v3
	v_cndmask_b32_e32 v1, v26, v20, vcc
	v_xor_b32_e32 v3, v7, v3
	v_cndmask_b32_e64 v10, 0, v1, s[0:1]
	v_cndmask_b32_e64 v11, v5, v3, s[0:1]
	s_mov_b32 s0, 0
	s_brev_b32 s1, 8
	v_cmp_gt_f64_e32 vcc, s[0:1], v[16:17]
	v_cndmask_b32_e64 v1, 0, 1, vcc
	v_lshlrev_b32_e32 v1, 8, v1
	v_ldexp_f64 v[16:17], v[16:17], v1
	v_mul_f64 v[10:11], v[18:19], v[10:11]
	v_rsq_f64_e32 v[18:19], v[16:17]
	v_mov_b32_e32 v1, 0xffffff80
	v_cndmask_b32_e32 v1, 0, v1, vcc
	s_mov_b32 s0, 0x33d43651
	v_mul_f64 v[20:21], v[16:17], v[18:19]
	v_mul_f64 v[18:19], v[18:19], 0.5
	v_fma_f64 v[22:23], -v[18:19], v[20:21], 0.5
	v_fmac_f64_e32 v[20:21], v[20:21], v[22:23]
	v_fma_f64 v[24:25], -v[20:21], v[20:21], v[16:17]
	v_fmac_f64_e32 v[18:19], v[18:19], v[22:23]
	v_fmac_f64_e32 v[20:21], v[24:25], v[18:19]
	v_fma_f64 v[22:23], -v[20:21], v[20:21], v[16:17]
	v_fmac_f64_e32 v[20:21], v[22:23], v[18:19]
	v_ldexp_f64 v[18:19], v[20:21], v1
	v_mov_b32_e32 v1, 0x260
	v_fmac_f64_e32 v[10:11], v[28:29], v[34:35]
	s_mov_b32 s1, 0x3fe98845
	v_cmp_class_f64_e32 vcc, v[16:17], v1
	v_mul_f64 v[10:11], v[10:11], s[0:1]
	v_cndmask_b32_e32 v17, v19, v17, vcc
	v_cndmask_b32_e32 v16, v18, v16, vcc
	v_div_scale_f64 v[18:19], s[0:1], v[16:17], v[16:17], v[10:11]
	v_rcp_f64_e32 v[20:21], v[18:19]
	v_fma_f64 v[22:23], -v[18:19], v[20:21], 1.0
	v_fmac_f64_e32 v[20:21], v[20:21], v[22:23]
	v_fma_f64 v[22:23], -v[18:19], v[20:21], 1.0
	v_fmac_f64_e32 v[20:21], v[20:21], v[22:23]
	v_div_scale_f64 v[22:23], vcc, v[10:11], v[16:17], v[10:11]
	v_mul_f64 v[24:25], v[22:23], v[20:21]
	v_fma_f64 v[18:19], -v[18:19], v[24:25], v[22:23]
	s_nop 1
	v_div_fmas_f64 v[18:19], v[18:19], v[20:21], v[24:25]
	v_div_fixup_f64 v[10:11], v[18:19], v[16:17], v[10:11]
.LBB7_90:
	s_or_b64 exec, exec, s[2:3]
	global_load_dwordx2 v[14:15], v14, s[6:7]
	s_mov_b32 s0, 0
	s_mov_b32 s1, 0x40140000
	s_waitcnt vmcnt(0)
	v_xor_b32_e32 v1, 0x80000000, v15
	v_cmp_gt_f64_e32 vcc, 0, v[14:15]
	v_cndmask_b32_e32 v17, v15, v1, vcc
	v_cndmask_b32_e32 v16, v14, v14, vcc
	v_cmp_ge_f64_e32 vcc, s[0:1], v[16:17]
                                        ; implicit-def: $vgpr14_vgpr15
	s_and_saveexec_b64 s[0:1], vcc
	s_xor_b64 s[0:1], exec, s[0:1]
	s_cbranch_execz .LBB7_96
; %bb.91:
	s_mov_b32 s2, 0x88e368f1
	s_mov_b32 s3, 0x3ee4f8b5
	v_cmp_ngt_f64_e32 vcc, s[2:3], v[16:17]
	v_mul_f64 v[16:17], v[16:17], v[16:17]
                                        ; implicit-def: $vgpr14_vgpr15
	s_and_saveexec_b64 s[2:3], vcc
	s_xor_b64 s[2:3], exec, s[2:3]
	s_cbranch_execz .LBB7_93
; %bb.92:
	v_mov_b32_e32 v14, 0xad1c8325
	v_mov_b32_e32 v15, 0xc1f1dc53
	v_fmac_f64_e32 v[14:15], 0, v[16:17]
	v_mov_b32_e32 v18, 0xc772990d
	v_mov_b32_e32 v19, 0x427c7751
	v_fmac_f64_e32 v[18:19], v[16:17], v[14:15]
	;; [unrolled: 3-line block ×10, first 2 shown]
	v_mov_b32_e32 v20, 0xc7b662cc
	v_mov_b32_e32 v21, 0x43b7be34
	s_mov_b32 s8, 0x80462bbb
	v_fmac_f64_e32 v[20:21], v[16:17], v[18:19]
	v_mov_b32_e32 v18, 0x69ff5fb4
	v_mov_b32_e32 v19, 0x43413ef8
	s_mov_b32 s9, 0xc01721fb
	v_fmac_f64_e32 v[18:19], v[16:17], v[14:15]
	v_add_f64 v[14:15], v[16:17], s[8:9]
	s_mov_b32 s8, 0xa621dd6f
	s_mov_b32 s9, 0xc03e78a4
	v_add_f64 v[16:17], v[16:17], s[8:9]
	v_mul_f64 v[14:15], v[14:15], v[16:17]
	v_mul_f64 v[14:15], v[14:15], v[18:19]
	v_div_scale_f64 v[16:17], s[8:9], v[20:21], v[20:21], v[14:15]
	v_rcp_f64_e32 v[18:19], v[16:17]
	v_fma_f64 v[22:23], -v[16:17], v[18:19], 1.0
	v_fmac_f64_e32 v[18:19], v[18:19], v[22:23]
	v_fma_f64 v[22:23], -v[16:17], v[18:19], 1.0
	v_fmac_f64_e32 v[18:19], v[18:19], v[22:23]
	v_div_scale_f64 v[22:23], vcc, v[14:15], v[20:21], v[14:15]
	v_mul_f64 v[24:25], v[22:23], v[18:19]
	v_fma_f64 v[16:17], -v[16:17], v[24:25], v[22:23]
	s_nop 1
	v_div_fmas_f64 v[16:17], v[16:17], v[18:19], v[24:25]
	v_div_fixup_f64 v[14:15], v[16:17], v[20:21], v[14:15]
                                        ; implicit-def: $vgpr16_vgpr17
.LBB7_93:
	s_andn2_saveexec_b64 s[2:3], s[2:3]
; %bb.94:
	s_mov_b32 s8, 0
	s_mov_b32 s9, 0xbfd00000
	v_fma_f64 v[14:15], v[16:17], s[8:9], 1.0
; %bb.95:
	s_or_b64 exec, exec, s[2:3]
                                        ; implicit-def: $vgpr16_vgpr17
.LBB7_96:
	s_andn2_saveexec_b64 s[2:3], s[0:1]
	s_cbranch_execz .LBB7_106
; %bb.97:
	s_mov_b32 s11, 0xbfe921fb
	s_mov_b32 s10, 0x54442d18
	;; [unrolled: 1-line block ×3, first 2 shown]
	v_add_f64 v[14:15], v[16:17], s[10:11]
	s_mov_b32 s1, 0x41d00000
	v_cmp_nlt_f64_e64 s[8:9], |v[14:15]|, s[0:1]
	v_trig_preop_f64 v[30:31], |v[14:15]|, 0
	v_trig_preop_f64 v[28:29], |v[14:15]|, 1
	;; [unrolled: 1-line block ×3, first 2 shown]
                                        ; implicit-def: $vgpr1
                                        ; implicit-def: $vgpr18_vgpr19
                                        ; implicit-def: $vgpr20_vgpr21
	s_and_saveexec_b64 s[0:1], s[8:9]
	s_xor_b64 s[12:13], exec, s[0:1]
	s_cbranch_execz .LBB7_99
; %bb.98:
	s_mov_b32 s0, 0
	s_mov_b32 s1, 0x7b000000
	s_movk_i32 s11, 0xff80
	v_and_b32_e32 v1, 0x7fffffff, v15
	v_ldexp_f64 v[18:19], |v[14:15]|, s11
	v_cmp_ge_f64_e64 vcc, |v[14:15]|, s[0:1]
	v_cndmask_b32_e32 v19, v1, v19, vcc
	v_cndmask_b32_e32 v18, v14, v18, vcc
	v_mul_f64 v[22:23], v[30:31], v[18:19]
	v_mul_f64 v[20:21], v[28:29], v[18:19]
	v_fma_f64 v[24:25], v[30:31], v[18:19], -v[22:23]
	v_add_f64 v[32:33], v[20:21], v[24:25]
	v_add_f64 v[34:35], v[22:23], v[32:33]
	s_mov_b32 s0, 0
	v_ldexp_f64 v[36:37], v[34:35], -2
	s_mov_b32 s1, 0x7ff00000
	v_fract_f64_e32 v[38:39], v[36:37]
	v_cmp_neq_f64_e64 vcc, |v[36:37]|, s[0:1]
	v_cndmask_b32_e32 v37, 0, v39, vcc
	v_cndmask_b32_e32 v36, 0, v38, vcc
	v_add_f64 v[38:39], v[32:33], -v[20:21]
	v_add_f64 v[24:25], v[24:25], -v[38:39]
	;; [unrolled: 1-line block ×4, first 2 shown]
	v_add_f64 v[24:25], v[24:25], v[38:39]
	v_fma_f64 v[20:21], v[28:29], v[18:19], -v[20:21]
	v_mul_f64 v[38:39], v[26:27], v[18:19]
	v_add_f64 v[42:43], v[38:39], v[20:21]
	v_add_f64 v[44:45], v[42:43], v[24:25]
	v_add_f64 v[22:23], v[34:35], -v[22:23]
	v_add_f64 v[34:35], v[44:45], -v[42:43]
	;; [unrolled: 1-line block ×5, first 2 shown]
	v_add_f64 v[24:25], v[24:25], v[34:35]
	v_add_f64 v[34:35], v[42:43], -v[38:39]
	v_add_f64 v[20:21], v[20:21], -v[34:35]
	;; [unrolled: 1-line block ×5, first 2 shown]
	v_add_f64 v[32:33], v[22:23], v[44:45]
	v_add_f64 v[20:21], v[20:21], v[34:35]
	v_add_f64 v[22:23], v[32:33], -v[22:23]
	v_add_f64 v[20:21], v[20:21], v[24:25]
	v_fma_f64 v[18:19], v[26:27], v[18:19], -v[38:39]
	v_add_f64 v[22:23], v[44:45], -v[22:23]
	v_add_f64 v[18:19], v[18:19], v[20:21]
	v_ldexp_f64 v[20:21], v[36:37], 2
	v_add_f64 v[18:19], v[22:23], v[18:19]
	v_add_f64 v[22:23], v[32:33], v[20:21]
	v_mov_b32_e32 v1, 0x40100000
	v_cmp_gt_f64_e32 vcc, 0, v[22:23]
	v_mov_b32_e32 v40, 0
	v_cndmask_b32_e32 v41, 0, v1, vcc
	v_add_f64 v[20:21], v[20:21], v[40:41]
	v_add_f64 v[22:23], v[32:33], v[20:21]
	v_cvt_i32_f64_e32 v1, v[22:23]
	v_cvt_f64_i32_e32 v[22:23], v1
	v_add_f64 v[20:21], v[20:21], -v[22:23]
	v_add_f64 v[22:23], v[32:33], v[20:21]
	v_add_f64 v[20:21], v[22:23], -v[20:21]
	v_cmp_le_f64_e32 vcc, 0.5, v[22:23]
	v_mov_b32_e32 v3, 0x3ff00000
	v_add_f64 v[20:21], v[32:33], -v[20:21]
	v_cndmask_b32_e32 v41, 0, v3, vcc
	v_add_f64 v[18:19], v[18:19], v[20:21]
	v_add_f64 v[20:21], v[22:23], -v[40:41]
	v_add_f64 v[22:23], v[20:21], v[18:19]
	v_addc_co_u32_e64 v1, s[0:1], 0, v1, vcc
	v_add_f64 v[20:21], v[22:23], -v[20:21]
	s_mov_b32 s11, 0x3ff921fb
	v_add_f64 v[18:19], v[18:19], -v[20:21]
	v_mul_f64 v[20:21], v[22:23], s[10:11]
	s_mov_b32 s0, 0x33145c07
	v_fma_f64 v[24:25], v[22:23], s[10:11], -v[20:21]
	s_mov_b32 s1, 0x3c91a626
	v_fmac_f64_e32 v[24:25], s[0:1], v[22:23]
	v_fmac_f64_e32 v[24:25], s[10:11], v[18:19]
	v_add_f64 v[18:19], v[20:21], v[24:25]
	v_add_f64 v[20:21], v[18:19], -v[20:21]
	v_add_f64 v[20:21], v[24:25], -v[20:21]
	s_andn2_saveexec_b64 s[0:1], s[12:13]
	s_cbranch_execz .LBB7_101
	s_branch .LBB7_100
.LBB7_99:
	s_andn2_saveexec_b64 s[0:1], s[12:13]
	s_cbranch_execz .LBB7_101
.LBB7_100:
	s_mov_b32 s10, 0x6dc9c883
	s_mov_b32 s11, 0x3fe45f30
	v_mul_f64 v[18:19], |v[14:15]|, s[10:11]
	s_mov_b32 s10, 0x54442d18
	v_rndne_f64_e32 v[22:23], v[18:19]
	s_mov_b32 s11, 0xbff921fb
	v_fma_f64 v[18:19], v[22:23], s[10:11], |v[14:15]|
	s_mov_b32 s11, 0xbc91a626
	s_mov_b32 s10, 0x33145c00
	v_mul_f64 v[24:25], v[22:23], s[10:11]
	v_add_f64 v[34:35], v[18:19], v[24:25]
	v_fma_f64 v[20:21], s[10:11], v[22:23], v[18:19]
	s_mov_b32 s11, 0x3c91a626
	v_add_f64 v[18:19], v[18:19], -v[34:35]
	v_fma_f64 v[32:33], s[10:11], v[22:23], v[24:25]
	v_add_f64 v[18:19], v[18:19], v[24:25]
	v_add_f64 v[24:25], v[34:35], -v[20:21]
	v_add_f64 v[18:19], v[24:25], v[18:19]
	s_mov_b32 s10, 0x252049c0
	v_add_f64 v[24:25], v[18:19], -v[32:33]
	s_mov_b32 s11, 0xb97b839a
	v_fmac_f64_e32 v[24:25], s[10:11], v[22:23]
	v_add_f64 v[18:19], v[20:21], v[24:25]
	v_add_f64 v[20:21], v[18:19], -v[20:21]
	v_add_f64 v[20:21], v[24:25], -v[20:21]
	v_cvt_i32_f64_e32 v1, v[22:23]
.LBB7_101:
	s_or_b64 exec, exec, s[0:1]
                                        ; implicit-def: $vgpr3
                                        ; implicit-def: $vgpr22_vgpr23
                                        ; implicit-def: $vgpr24_vgpr25
	s_and_saveexec_b64 s[0:1], s[8:9]
	s_xor_b64 s[8:9], exec, s[0:1]
	s_cbranch_execz .LBB7_103
; %bb.102:
	s_mov_b32 s0, 0
	s_mov_b32 s1, 0x7b000000
	s_movk_i32 s10, 0xff80
	v_and_b32_e32 v3, 0x7fffffff, v15
	v_ldexp_f64 v[22:23], |v[14:15]|, s10
	v_cmp_ge_f64_e64 vcc, |v[14:15]|, s[0:1]
	v_cndmask_b32_e32 v23, v3, v23, vcc
	v_cndmask_b32_e32 v22, v14, v22, vcc
	v_mul_f64 v[32:33], v[30:31], v[22:23]
	v_mul_f64 v[24:25], v[28:29], v[22:23]
	v_fma_f64 v[30:31], v[30:31], v[22:23], -v[32:33]
	v_add_f64 v[34:35], v[24:25], v[30:31]
	v_add_f64 v[36:37], v[32:33], v[34:35]
	s_mov_b32 s0, 0
	v_ldexp_f64 v[38:39], v[36:37], -2
	s_mov_b32 s1, 0x7ff00000
	v_fract_f64_e32 v[40:41], v[38:39]
	v_cmp_neq_f64_e64 vcc, |v[38:39]|, s[0:1]
	v_cndmask_b32_e32 v39, 0, v41, vcc
	v_cndmask_b32_e32 v38, 0, v40, vcc
	v_add_f64 v[40:41], v[34:35], -v[24:25]
	v_add_f64 v[30:31], v[30:31], -v[40:41]
	;; [unrolled: 1-line block ×4, first 2 shown]
	v_fma_f64 v[24:25], v[28:29], v[22:23], -v[24:25]
	v_mul_f64 v[28:29], v[26:27], v[22:23]
	v_add_f64 v[30:31], v[30:31], v[40:41]
	v_add_f64 v[40:41], v[28:29], v[24:25]
	;; [unrolled: 1-line block ×3, first 2 shown]
	v_add_f64 v[32:33], v[36:37], -v[32:33]
	v_add_f64 v[36:37], v[44:45], -v[40:41]
	;; [unrolled: 1-line block ×5, first 2 shown]
	v_add_f64 v[30:31], v[30:31], v[36:37]
	v_add_f64 v[36:37], v[40:41], -v[28:29]
	v_add_f64 v[24:25], v[24:25], -v[36:37]
	;; [unrolled: 1-line block ×4, first 2 shown]
	v_add_f64 v[24:25], v[24:25], v[36:37]
	v_add_f64 v[32:33], v[34:35], -v[32:33]
	v_add_f64 v[24:25], v[24:25], v[30:31]
	v_fma_f64 v[22:23], v[26:27], v[22:23], -v[28:29]
	v_add_f64 v[34:35], v[32:33], v[44:45]
	v_add_f64 v[22:23], v[22:23], v[24:25]
	v_ldexp_f64 v[24:25], v[38:39], 2
	v_add_f64 v[26:27], v[34:35], v[24:25]
	v_mov_b32_e32 v3, 0x40100000
	v_cmp_gt_f64_e32 vcc, 0, v[26:27]
	v_mov_b32_e32 v42, 0
	v_cndmask_b32_e32 v43, 0, v3, vcc
	v_add_f64 v[24:25], v[24:25], v[42:43]
	v_add_f64 v[26:27], v[34:35], v[24:25]
	v_cvt_i32_f64_e32 v3, v[26:27]
	v_cvt_f64_i32_e32 v[26:27], v3
	v_add_f64 v[24:25], v[24:25], -v[26:27]
	v_add_f64 v[32:33], v[34:35], -v[32:33]
	v_add_f64 v[26:27], v[34:35], v[24:25]
	v_add_f64 v[32:33], v[44:45], -v[32:33]
	v_add_f64 v[24:25], v[26:27], -v[24:25]
	v_cmp_le_f64_e32 vcc, 0.5, v[26:27]
	v_mov_b32_e32 v5, 0x3ff00000
	v_add_f64 v[22:23], v[32:33], v[22:23]
	v_add_f64 v[24:25], v[34:35], -v[24:25]
	v_cndmask_b32_e32 v43, 0, v5, vcc
	v_add_f64 v[22:23], v[22:23], v[24:25]
	v_addc_co_u32_e64 v3, s[0:1], 0, v3, vcc
	v_add_f64 v[24:25], v[26:27], -v[42:43]
	v_add_f64 v[26:27], v[24:25], v[22:23]
	s_mov_b32 s0, 0x54442d18
	v_add_f64 v[24:25], v[26:27], -v[24:25]
	s_mov_b32 s1, 0x3ff921fb
	v_add_f64 v[22:23], v[22:23], -v[24:25]
	v_mul_f64 v[24:25], v[26:27], s[0:1]
	s_mov_b32 s10, 0x33145c07
	v_fma_f64 v[28:29], v[26:27], s[0:1], -v[24:25]
	s_mov_b32 s11, 0x3c91a626
	v_fmac_f64_e32 v[28:29], s[10:11], v[26:27]
	v_fmac_f64_e32 v[28:29], s[0:1], v[22:23]
	v_add_f64 v[22:23], v[24:25], v[28:29]
	v_add_f64 v[24:25], v[22:23], -v[24:25]
	v_add_f64 v[24:25], v[28:29], -v[24:25]
	s_andn2_saveexec_b64 s[0:1], s[8:9]
	s_cbranch_execnz .LBB7_104
	s_branch .LBB7_105
.LBB7_103:
	s_andn2_saveexec_b64 s[0:1], s[8:9]
	s_cbranch_execz .LBB7_105
.LBB7_104:
	s_mov_b32 s8, 0x6dc9c883
	s_mov_b32 s9, 0x3fe45f30
	v_mul_f64 v[22:23], |v[14:15]|, s[8:9]
	s_mov_b32 s8, 0x54442d18
	v_rndne_f64_e32 v[26:27], v[22:23]
	s_mov_b32 s9, 0xbff921fb
	v_fma_f64 v[22:23], v[26:27], s[8:9], |v[14:15]|
	s_mov_b32 s9, 0xbc91a626
	s_mov_b32 s8, 0x33145c00
	v_mul_f64 v[28:29], v[26:27], s[8:9]
	v_add_f64 v[32:33], v[22:23], v[28:29]
	v_fma_f64 v[24:25], s[8:9], v[26:27], v[22:23]
	s_mov_b32 s9, 0x3c91a626
	v_add_f64 v[22:23], v[22:23], -v[32:33]
	v_fma_f64 v[30:31], s[8:9], v[26:27], v[28:29]
	v_add_f64 v[22:23], v[22:23], v[28:29]
	v_add_f64 v[28:29], v[32:33], -v[24:25]
	v_add_f64 v[22:23], v[28:29], v[22:23]
	s_mov_b32 s8, 0x252049c0
	v_add_f64 v[28:29], v[22:23], -v[30:31]
	s_mov_b32 s9, 0xb97b839a
	v_fmac_f64_e32 v[28:29], s[8:9], v[26:27]
	v_add_f64 v[22:23], v[24:25], v[28:29]
	v_add_f64 v[24:25], v[22:23], -v[24:25]
	v_add_f64 v[24:25], v[28:29], -v[24:25]
	v_cvt_i32_f64_e32 v3, v[26:27]
.LBB7_105:
	s_or_b64 exec, exec, s[0:1]
	s_mov_b32 s0, 0
	v_mul_f64 v[26:27], v[16:17], v[16:17]
	s_mov_b32 s1, 0x40390000
	v_div_scale_f64 v[28:29], s[8:9], v[26:27], v[26:27], s[0:1]
	v_rcp_f64_e32 v[30:31], v[28:29]
	v_mov_b32_e32 v36, 0x55b218cd
	v_mov_b32_e32 v37, 0xc049b48c
	s_mov_b32 s8, 0x46cc5e42
	v_fma_f64 v[32:33], -v[28:29], v[30:31], 1.0
	v_fmac_f64_e32 v[30:31], v[30:31], v[32:33]
	v_fma_f64 v[32:33], -v[28:29], v[30:31], 1.0
	v_fmac_f64_e32 v[30:31], v[30:31], v[32:33]
	v_div_scale_f64 v[32:33], vcc, s[0:1], v[26:27], s[0:1]
	v_mul_f64 v[34:35], v[32:33], v[30:31]
	v_fma_f64 v[28:29], -v[28:29], v[34:35], v[32:33]
	v_mov_b32_e32 v32, 0xab5454e3
	s_nop 0
	v_div_fmas_f64 v[28:29], v[28:29], v[30:31], v[34:35]
	v_div_fixup_f64 v[28:29], v[28:29], v[26:27], s[0:1]
	v_mov_b32_e32 v26, 0x983b6b27
	v_mov_b32_e32 v27, 0x3f4a1d30
	v_fmac_f64_e32 v[26:27], 0, v[28:29]
	v_mov_b32_e32 v30, 0xb35dd1cf
	v_mov_b32_e32 v31, 0x3fb534b0
	v_fmac_f64_e32 v[30:31], v[28:29], v[26:27]
	;; [unrolled: 3-line block ×7, first 2 shown]
	v_mov_b32_e32 v33, 0x3fb5ebc5
	v_fmac_f64_e32 v[32:33], v[28:29], v[26:27]
	v_mov_b32_e32 v26, 0xc9b3069f
	v_mov_b32_e32 v27, 0x3ff40e72
	v_fmac_f64_e32 v[26:27], v[28:29], v[32:33]
	v_mov_b32_e32 v32, 0xe68162bb
	;; [unrolled: 3-line block ×10, first 2 shown]
	v_mov_b32_e32 v35, 0xc062627a
	v_fmac_f64_e32 v[34:35], v[28:29], v[26:27]
	v_fmac_f64_e32 v[36:37], v[28:29], v[34:35]
	v_mov_b32_e32 v26, 0xd1b9a1dd
	v_mov_b32_e32 v27, 0xc0183358
	;; [unrolled: 1-line block ×4, first 2 shown]
	v_fmac_f64_e32 v[26:27], v[28:29], v[36:37]
	v_fmac_f64_e32 v[34:35], 0, v[28:29]
	v_mov_b32_e32 v36, 0xb1759c7f
	v_mov_b32_e32 v37, 0x408ac370
	v_fmac_f64_e32 v[36:37], v[28:29], v[34:35]
	v_mov_b32_e32 v34, 0xbd748cb5
	v_mov_b32_e32 v35, 0x40ae54cd
	;; [unrolled: 3-line block ×5, first 2 shown]
	v_fma_f64 v[32:33], v[28:29], v[32:33], 1.0
	v_fmac_f64_e32 v[36:37], v[28:29], v[34:35]
	v_fma_f64 v[34:35], v[28:29], v[30:31], 1.0
	v_div_scale_f64 v[38:39], s[0:1], v[32:33], v[32:33], v[34:35]
	v_rcp_f64_e32 v[40:41], v[38:39]
	v_mov_b32_e32 v30, 0x6280a54
	v_mov_b32_e32 v31, 0x406e402f
	v_fmac_f64_e32 v[30:31], v[28:29], v[36:37]
	v_fma_f64 v[28:29], -v[38:39], v[40:41], 1.0
	v_fmac_f64_e32 v[40:41], v[40:41], v[28:29]
	v_fma_f64 v[28:29], -v[38:39], v[40:41], 1.0
	v_fmac_f64_e32 v[40:41], v[40:41], v[28:29]
	v_div_scale_f64 v[28:29], vcc, v[34:35], v[32:33], v[34:35]
	v_mul_f64 v[36:37], v[28:29], v[40:41]
	v_fma_f64 v[28:29], -v[38:39], v[36:37], v[28:29]
	s_mov_b32 s0, 0x9037ab78
	s_nop 0
	v_div_fmas_f64 v[28:29], v[28:29], v[40:41], v[36:37]
	v_div_fixup_f64 v[28:29], v[28:29], v[32:33], v[34:35]
	v_mul_f64 v[34:35], v[18:19], v[18:19]
	v_mul_f64 v[32:33], v[34:35], 0.5
	v_add_f64 v[36:37], -v[32:33], 1.0
	v_add_f64 v[38:39], -v[36:37], 1.0
	s_mov_b32 s1, 0x3e21eeb6
	v_add_f64 v[38:39], v[38:39], -v[32:33]
	s_mov_b32 s9, 0xbda907db
	v_pk_mov_b32 v[32:33], s[0:1], s[0:1] op_sel:[0,1]
	s_mov_b32 s10, 0xa17f65f6
	v_fma_f64 v[42:43], s[8:9], v[34:35], v[32:33]
	s_mov_b32 s11, 0xbe927e4f
	s_mov_b32 s12, 0x19f4ec90
	v_fma_f64 v[42:43], v[34:35], v[42:43], s[10:11]
	s_mov_b32 s13, 0x3efa01a0
	;; [unrolled: 3-line block ×4, first 2 shown]
	v_mul_f64 v[40:41], v[34:35], v[34:35]
	v_fma_f64 v[42:43], v[34:35], v[42:43], s[16:17]
	v_fma_f64 v[38:39], v[18:19], -v[20:21], v[38:39]
	s_mov_b32 s0, 0xb42fdfa7
	v_fmac_f64_e32 v[38:39], v[40:41], v[42:43]
	s_mov_b32 s1, 0xbe5ae600
	s_mov_b32 s18, 0xf9a43bb8
	v_add_f64 v[36:37], v[36:37], v[38:39]
	s_mov_b32 s19, 0x3de5e0b2
	v_pk_mov_b32 v[38:39], s[0:1], s[0:1] op_sel:[0,1]
	s_mov_b32 s20, 0x796cde01
	v_fma_f64 v[40:41], s[18:19], v[34:35], v[38:39]
	s_mov_b32 s21, 0x3ec71de3
	s_mov_b32 s22, 0x19e83e5c
	v_fma_f64 v[40:41], v[34:35], v[40:41], s[20:21]
	s_mov_b32 s23, 0xbf2a01a0
	;; [unrolled: 3-line block ×3, first 2 shown]
	v_fma_f64 v[40:41], v[34:35], v[40:41], s[24:25]
	v_mul_f64 v[42:43], v[18:19], -v[34:35]
	v_mul_f64 v[44:45], v[20:21], 0.5
	v_fmac_f64_e32 v[44:45], v[42:43], v[40:41]
	v_fma_f64 v[20:21], v[34:35], v[44:45], -v[20:21]
	s_mov_b32 s27, 0xbfc55555
	s_mov_b32 s26, s16
	v_fmac_f64_e32 v[20:21], s[26:27], v[42:43]
	v_and_b32_e32 v7, 1, v1
	s_mov_b32 s28, 0
	v_add_f64 v[18:19], v[18:19], -v[20:21]
	v_cmp_eq_u32_e32 vcc, 0, v7
	s_mov_b32 s29, 0xc0140000
	v_xor_b32_e32 v5, 0x80000000, v19
	v_cndmask_b32_e32 v7, v18, v36, vcc
	v_div_scale_f64 v[18:19], s[0:1], v[16:17], v[16:17], s[28:29]
	v_rcp_f64_e32 v[20:21], v[18:19]
	v_cndmask_b32_e32 v5, v5, v37, vcc
	s_movk_i32 s30, 0x1f8
	v_cmp_class_f64_e64 s[0:1], v[14:15], s30
	v_fma_f64 v[36:37], -v[18:19], v[20:21], 1.0
	v_fmac_f64_e32 v[20:21], v[20:21], v[36:37]
	v_fma_f64 v[36:37], -v[18:19], v[20:21], 1.0
	v_fmac_f64_e32 v[20:21], v[20:21], v[36:37]
	v_div_scale_f64 v[36:37], vcc, s[28:29], v[16:17], s[28:29]
	v_mul_f64 v[40:41], v[36:37], v[20:21]
	v_fma_f64 v[18:19], -v[18:19], v[40:41], v[36:37]
	v_div_scale_f64 v[36:37], s[30:31], v[30:31], v[30:31], v[26:27]
	v_rcp_f64_e32 v[42:43], v[36:37]
	v_div_fmas_f64 v[18:19], v[18:19], v[20:21], v[40:41]
	v_div_fixup_f64 v[18:19], v[18:19], v[16:17], s[28:29]
	v_lshlrev_b32_e32 v1, 30, v1
	v_fma_f64 v[20:21], -v[36:37], v[42:43], 1.0
	v_fmac_f64_e32 v[42:43], v[42:43], v[20:21]
	v_fma_f64 v[20:21], -v[36:37], v[42:43], 1.0
	v_fmac_f64_e32 v[42:43], v[42:43], v[20:21]
	v_div_scale_f64 v[20:21], vcc, v[26:27], v[30:31], v[26:27]
	v_mul_f64 v[40:41], v[20:21], v[42:43]
	v_fma_f64 v[20:21], -v[36:37], v[40:41], v[20:21]
	v_and_b32_e32 v1, 0x80000000, v1
	s_nop 0
	v_div_fmas_f64 v[20:21], v[20:21], v[42:43], v[40:41]
	v_div_fixup_f64 v[20:21], v[20:21], v[30:31], v[26:27]
	v_mul_f64 v[18:19], v[18:19], v[20:21]
	v_mul_f64 v[20:21], v[22:23], v[22:23]
	v_mul_f64 v[26:27], v[20:21], 0.5
	v_fmac_f64_e32 v[32:33], s[8:9], v[20:21]
	v_add_f64 v[30:31], -v[26:27], 1.0
	v_fma_f64 v[32:33], v[20:21], v[32:33], s[10:11]
	v_add_f64 v[36:37], -v[30:31], 1.0
	v_fma_f64 v[32:33], v[20:21], v[32:33], s[12:13]
	v_add_f64 v[26:27], v[36:37], -v[26:27]
	v_fma_f64 v[32:33], v[20:21], v[32:33], s[14:15]
	v_mul_f64 v[36:37], v[20:21], v[20:21]
	v_fma_f64 v[32:33], v[20:21], v[32:33], s[16:17]
	v_fma_f64 v[26:27], v[22:23], -v[24:25], v[26:27]
	v_fmac_f64_e32 v[26:27], v[36:37], v[32:33]
	v_fmac_f64_e32 v[38:39], s[18:19], v[20:21]
	v_add_f64 v[26:27], v[30:31], v[26:27]
	v_fma_f64 v[30:31], v[20:21], v[38:39], s[20:21]
	v_fma_f64 v[30:31], v[20:21], v[30:31], s[22:23]
	;; [unrolled: 1-line block ×3, first 2 shown]
	v_mul_f64 v[32:33], v[22:23], -v[20:21]
	v_mul_f64 v[36:37], v[24:25], 0.5
	v_fmac_f64_e32 v[36:37], v[32:33], v[30:31]
	v_xor_b32_e32 v1, v5, v1
	v_mov_b32_e32 v5, 0x7ff80000
	v_fma_f64 v[20:21], v[20:21], v[36:37], -v[24:25]
	v_cndmask_b32_e64 v35, v5, v1, s[0:1]
	v_fmac_f64_e32 v[20:21], s[26:27], v[32:33]
	v_and_b32_e32 v1, 1, v3
	v_lshlrev_b32_e32 v3, 30, v3
	v_add_f64 v[20:21], v[22:23], -v[20:21]
	v_cmp_eq_u32_e32 vcc, 0, v1
	v_xor_b32_e32 v3, v3, v15
	v_cndmask_b32_e64 v34, 0, v7, s[0:1]
	v_cndmask_b32_e32 v7, v27, v21, vcc
	v_and_b32_e32 v3, 0x80000000, v3
	v_cndmask_b32_e32 v1, v26, v20, vcc
	v_xor_b32_e32 v3, v7, v3
	v_cndmask_b32_e64 v14, 0, v1, s[0:1]
	v_cndmask_b32_e64 v15, v5, v3, s[0:1]
	s_mov_b32 s0, 0
	s_brev_b32 s1, 8
	v_cmp_gt_f64_e32 vcc, s[0:1], v[16:17]
	v_cndmask_b32_e64 v1, 0, 1, vcc
	v_lshlrev_b32_e32 v1, 8, v1
	v_ldexp_f64 v[16:17], v[16:17], v1
	v_mul_f64 v[14:15], v[18:19], v[14:15]
	v_rsq_f64_e32 v[18:19], v[16:17]
	v_mov_b32_e32 v1, 0xffffff80
	v_cndmask_b32_e32 v1, 0, v1, vcc
	s_mov_b32 s0, 0x33d43651
	v_mul_f64 v[20:21], v[16:17], v[18:19]
	v_mul_f64 v[18:19], v[18:19], 0.5
	v_fma_f64 v[22:23], -v[18:19], v[20:21], 0.5
	v_fmac_f64_e32 v[20:21], v[20:21], v[22:23]
	v_fma_f64 v[24:25], -v[20:21], v[20:21], v[16:17]
	v_fmac_f64_e32 v[18:19], v[18:19], v[22:23]
	v_fmac_f64_e32 v[20:21], v[24:25], v[18:19]
	v_fma_f64 v[22:23], -v[20:21], v[20:21], v[16:17]
	v_fmac_f64_e32 v[20:21], v[22:23], v[18:19]
	v_ldexp_f64 v[18:19], v[20:21], v1
	v_mov_b32_e32 v1, 0x260
	v_fmac_f64_e32 v[14:15], v[28:29], v[34:35]
	s_mov_b32 s1, 0x3fe98845
	v_cmp_class_f64_e32 vcc, v[16:17], v1
	v_mul_f64 v[14:15], v[14:15], s[0:1]
	v_cndmask_b32_e32 v17, v19, v17, vcc
	v_cndmask_b32_e32 v16, v18, v16, vcc
	v_div_scale_f64 v[18:19], s[0:1], v[16:17], v[16:17], v[14:15]
	v_rcp_f64_e32 v[20:21], v[18:19]
	v_fma_f64 v[22:23], -v[18:19], v[20:21], 1.0
	v_fmac_f64_e32 v[20:21], v[20:21], v[22:23]
	v_fma_f64 v[22:23], -v[18:19], v[20:21], 1.0
	v_fmac_f64_e32 v[20:21], v[20:21], v[22:23]
	v_div_scale_f64 v[22:23], vcc, v[14:15], v[16:17], v[14:15]
	v_mul_f64 v[24:25], v[22:23], v[20:21]
	v_fma_f64 v[18:19], -v[18:19], v[24:25], v[22:23]
	s_nop 1
	v_div_fmas_f64 v[18:19], v[18:19], v[20:21], v[24:25]
	v_div_fixup_f64 v[14:15], v[18:19], v[16:17], v[14:15]
.LBB7_106:
	s_or_b64 exec, exec, s[2:3]
	global_load_dwordx2 v[12:13], v12, s[6:7]
	s_mov_b32 s0, 0
	s_mov_b32 s1, 0x40140000
	s_waitcnt vmcnt(0)
	v_xor_b32_e32 v1, 0x80000000, v13
	v_cmp_gt_f64_e32 vcc, 0, v[12:13]
	v_cndmask_b32_e32 v17, v13, v1, vcc
	v_cndmask_b32_e32 v16, v12, v12, vcc
	v_cmp_ge_f64_e32 vcc, s[0:1], v[16:17]
                                        ; implicit-def: $vgpr12_vgpr13
	s_and_saveexec_b64 s[0:1], vcc
	s_xor_b64 s[0:1], exec, s[0:1]
	s_cbranch_execz .LBB7_112
; %bb.107:
	s_mov_b32 s2, 0x88e368f1
	s_mov_b32 s3, 0x3ee4f8b5
	v_cmp_ngt_f64_e32 vcc, s[2:3], v[16:17]
	v_mul_f64 v[16:17], v[16:17], v[16:17]
                                        ; implicit-def: $vgpr12_vgpr13
	s_and_saveexec_b64 s[2:3], vcc
	s_xor_b64 s[2:3], exec, s[2:3]
	s_cbranch_execz .LBB7_109
; %bb.108:
	v_mov_b32_e32 v12, 0xad1c8325
	v_mov_b32_e32 v13, 0xc1f1dc53
	v_fmac_f64_e32 v[12:13], 0, v[16:17]
	v_mov_b32_e32 v18, 0xc772990d
	v_mov_b32_e32 v19, 0x427c7751
	v_fmac_f64_e32 v[18:19], v[16:17], v[12:13]
	;; [unrolled: 3-line block ×10, first 2 shown]
	v_mov_b32_e32 v20, 0xc7b662cc
	v_mov_b32_e32 v21, 0x43b7be34
	s_mov_b32 s8, 0x80462bbb
	v_fmac_f64_e32 v[20:21], v[16:17], v[18:19]
	v_mov_b32_e32 v18, 0x69ff5fb4
	v_mov_b32_e32 v19, 0x43413ef8
	s_mov_b32 s9, 0xc01721fb
	v_fmac_f64_e32 v[18:19], v[16:17], v[12:13]
	v_add_f64 v[12:13], v[16:17], s[8:9]
	s_mov_b32 s8, 0xa621dd6f
	s_mov_b32 s9, 0xc03e78a4
	v_add_f64 v[16:17], v[16:17], s[8:9]
	v_mul_f64 v[12:13], v[12:13], v[16:17]
	v_mul_f64 v[12:13], v[12:13], v[18:19]
	v_div_scale_f64 v[16:17], s[8:9], v[20:21], v[20:21], v[12:13]
	v_rcp_f64_e32 v[18:19], v[16:17]
	v_fma_f64 v[22:23], -v[16:17], v[18:19], 1.0
	v_fmac_f64_e32 v[18:19], v[18:19], v[22:23]
	v_fma_f64 v[22:23], -v[16:17], v[18:19], 1.0
	v_fmac_f64_e32 v[18:19], v[18:19], v[22:23]
	v_div_scale_f64 v[22:23], vcc, v[12:13], v[20:21], v[12:13]
	v_mul_f64 v[24:25], v[22:23], v[18:19]
	v_fma_f64 v[16:17], -v[16:17], v[24:25], v[22:23]
	s_nop 1
	v_div_fmas_f64 v[16:17], v[16:17], v[18:19], v[24:25]
	v_div_fixup_f64 v[12:13], v[16:17], v[20:21], v[12:13]
                                        ; implicit-def: $vgpr16_vgpr17
.LBB7_109:
	s_andn2_saveexec_b64 s[2:3], s[2:3]
; %bb.110:
	s_mov_b32 s8, 0
	s_mov_b32 s9, 0xbfd00000
	v_fma_f64 v[12:13], v[16:17], s[8:9], 1.0
; %bb.111:
	s_or_b64 exec, exec, s[2:3]
                                        ; implicit-def: $vgpr16_vgpr17
.LBB7_112:
	s_andn2_saveexec_b64 s[2:3], s[0:1]
	s_cbranch_execz .LBB7_122
; %bb.113:
	s_mov_b32 s11, 0xbfe921fb
	s_mov_b32 s10, 0x54442d18
	;; [unrolled: 1-line block ×3, first 2 shown]
	v_add_f64 v[12:13], v[16:17], s[10:11]
	s_mov_b32 s1, 0x41d00000
	v_cmp_nlt_f64_e64 s[8:9], |v[12:13]|, s[0:1]
	v_trig_preop_f64 v[30:31], |v[12:13]|, 0
	v_trig_preop_f64 v[28:29], |v[12:13]|, 1
	;; [unrolled: 1-line block ×3, first 2 shown]
                                        ; implicit-def: $vgpr1
                                        ; implicit-def: $vgpr18_vgpr19
                                        ; implicit-def: $vgpr20_vgpr21
	s_and_saveexec_b64 s[0:1], s[8:9]
	s_xor_b64 s[12:13], exec, s[0:1]
	s_cbranch_execz .LBB7_115
; %bb.114:
	s_mov_b32 s0, 0
	s_mov_b32 s1, 0x7b000000
	s_movk_i32 s11, 0xff80
	v_and_b32_e32 v1, 0x7fffffff, v13
	v_ldexp_f64 v[18:19], |v[12:13]|, s11
	v_cmp_ge_f64_e64 vcc, |v[12:13]|, s[0:1]
	v_cndmask_b32_e32 v19, v1, v19, vcc
	v_cndmask_b32_e32 v18, v12, v18, vcc
	v_mul_f64 v[22:23], v[30:31], v[18:19]
	v_mul_f64 v[20:21], v[28:29], v[18:19]
	v_fma_f64 v[24:25], v[30:31], v[18:19], -v[22:23]
	v_add_f64 v[32:33], v[20:21], v[24:25]
	v_add_f64 v[34:35], v[22:23], v[32:33]
	s_mov_b32 s0, 0
	v_ldexp_f64 v[36:37], v[34:35], -2
	s_mov_b32 s1, 0x7ff00000
	v_fract_f64_e32 v[38:39], v[36:37]
	v_cmp_neq_f64_e64 vcc, |v[36:37]|, s[0:1]
	v_cndmask_b32_e32 v37, 0, v39, vcc
	v_cndmask_b32_e32 v36, 0, v38, vcc
	v_add_f64 v[38:39], v[32:33], -v[20:21]
	v_add_f64 v[24:25], v[24:25], -v[38:39]
	;; [unrolled: 1-line block ×4, first 2 shown]
	v_add_f64 v[24:25], v[24:25], v[38:39]
	v_fma_f64 v[20:21], v[28:29], v[18:19], -v[20:21]
	v_mul_f64 v[38:39], v[26:27], v[18:19]
	v_add_f64 v[42:43], v[38:39], v[20:21]
	v_add_f64 v[44:45], v[42:43], v[24:25]
	v_add_f64 v[22:23], v[34:35], -v[22:23]
	v_add_f64 v[34:35], v[44:45], -v[42:43]
	;; [unrolled: 1-line block ×5, first 2 shown]
	v_add_f64 v[24:25], v[24:25], v[34:35]
	v_add_f64 v[34:35], v[42:43], -v[38:39]
	v_add_f64 v[20:21], v[20:21], -v[34:35]
	;; [unrolled: 1-line block ×5, first 2 shown]
	v_add_f64 v[32:33], v[22:23], v[44:45]
	v_add_f64 v[20:21], v[20:21], v[34:35]
	v_add_f64 v[22:23], v[32:33], -v[22:23]
	v_add_f64 v[20:21], v[20:21], v[24:25]
	v_fma_f64 v[18:19], v[26:27], v[18:19], -v[38:39]
	v_add_f64 v[22:23], v[44:45], -v[22:23]
	v_add_f64 v[18:19], v[18:19], v[20:21]
	v_ldexp_f64 v[20:21], v[36:37], 2
	v_add_f64 v[18:19], v[22:23], v[18:19]
	v_add_f64 v[22:23], v[32:33], v[20:21]
	v_mov_b32_e32 v1, 0x40100000
	v_cmp_gt_f64_e32 vcc, 0, v[22:23]
	v_mov_b32_e32 v40, 0
	v_cndmask_b32_e32 v41, 0, v1, vcc
	v_add_f64 v[20:21], v[20:21], v[40:41]
	v_add_f64 v[22:23], v[32:33], v[20:21]
	v_cvt_i32_f64_e32 v1, v[22:23]
	v_cvt_f64_i32_e32 v[22:23], v1
	v_add_f64 v[20:21], v[20:21], -v[22:23]
	v_add_f64 v[22:23], v[32:33], v[20:21]
	v_add_f64 v[20:21], v[22:23], -v[20:21]
	v_cmp_le_f64_e32 vcc, 0.5, v[22:23]
	v_mov_b32_e32 v3, 0x3ff00000
	v_add_f64 v[20:21], v[32:33], -v[20:21]
	v_cndmask_b32_e32 v41, 0, v3, vcc
	v_add_f64 v[18:19], v[18:19], v[20:21]
	v_add_f64 v[20:21], v[22:23], -v[40:41]
	v_add_f64 v[22:23], v[20:21], v[18:19]
	v_addc_co_u32_e64 v1, s[0:1], 0, v1, vcc
	v_add_f64 v[20:21], v[22:23], -v[20:21]
	s_mov_b32 s11, 0x3ff921fb
	v_add_f64 v[18:19], v[18:19], -v[20:21]
	v_mul_f64 v[20:21], v[22:23], s[10:11]
	s_mov_b32 s0, 0x33145c07
	v_fma_f64 v[24:25], v[22:23], s[10:11], -v[20:21]
	s_mov_b32 s1, 0x3c91a626
	v_fmac_f64_e32 v[24:25], s[0:1], v[22:23]
	v_fmac_f64_e32 v[24:25], s[10:11], v[18:19]
	v_add_f64 v[18:19], v[20:21], v[24:25]
	v_add_f64 v[20:21], v[18:19], -v[20:21]
	v_add_f64 v[20:21], v[24:25], -v[20:21]
	s_andn2_saveexec_b64 s[0:1], s[12:13]
	s_cbranch_execz .LBB7_117
	s_branch .LBB7_116
.LBB7_115:
	s_andn2_saveexec_b64 s[0:1], s[12:13]
	s_cbranch_execz .LBB7_117
.LBB7_116:
	s_mov_b32 s10, 0x6dc9c883
	s_mov_b32 s11, 0x3fe45f30
	v_mul_f64 v[18:19], |v[12:13]|, s[10:11]
	s_mov_b32 s10, 0x54442d18
	v_rndne_f64_e32 v[22:23], v[18:19]
	s_mov_b32 s11, 0xbff921fb
	v_fma_f64 v[18:19], v[22:23], s[10:11], |v[12:13]|
	s_mov_b32 s11, 0xbc91a626
	s_mov_b32 s10, 0x33145c00
	v_mul_f64 v[24:25], v[22:23], s[10:11]
	v_add_f64 v[34:35], v[18:19], v[24:25]
	v_fma_f64 v[20:21], s[10:11], v[22:23], v[18:19]
	s_mov_b32 s11, 0x3c91a626
	v_add_f64 v[18:19], v[18:19], -v[34:35]
	v_fma_f64 v[32:33], s[10:11], v[22:23], v[24:25]
	v_add_f64 v[18:19], v[18:19], v[24:25]
	v_add_f64 v[24:25], v[34:35], -v[20:21]
	v_add_f64 v[18:19], v[24:25], v[18:19]
	s_mov_b32 s10, 0x252049c0
	v_add_f64 v[24:25], v[18:19], -v[32:33]
	s_mov_b32 s11, 0xb97b839a
	v_fmac_f64_e32 v[24:25], s[10:11], v[22:23]
	v_add_f64 v[18:19], v[20:21], v[24:25]
	v_add_f64 v[20:21], v[18:19], -v[20:21]
	v_add_f64 v[20:21], v[24:25], -v[20:21]
	v_cvt_i32_f64_e32 v1, v[22:23]
.LBB7_117:
	s_or_b64 exec, exec, s[0:1]
                                        ; implicit-def: $vgpr3
                                        ; implicit-def: $vgpr22_vgpr23
                                        ; implicit-def: $vgpr24_vgpr25
	s_and_saveexec_b64 s[0:1], s[8:9]
	s_xor_b64 s[8:9], exec, s[0:1]
	s_cbranch_execz .LBB7_119
; %bb.118:
	s_mov_b32 s0, 0
	s_mov_b32 s1, 0x7b000000
	s_movk_i32 s10, 0xff80
	v_and_b32_e32 v3, 0x7fffffff, v13
	v_ldexp_f64 v[22:23], |v[12:13]|, s10
	v_cmp_ge_f64_e64 vcc, |v[12:13]|, s[0:1]
	v_cndmask_b32_e32 v23, v3, v23, vcc
	v_cndmask_b32_e32 v22, v12, v22, vcc
	v_mul_f64 v[32:33], v[30:31], v[22:23]
	v_mul_f64 v[24:25], v[28:29], v[22:23]
	v_fma_f64 v[30:31], v[30:31], v[22:23], -v[32:33]
	v_add_f64 v[34:35], v[24:25], v[30:31]
	v_add_f64 v[36:37], v[32:33], v[34:35]
	s_mov_b32 s0, 0
	v_ldexp_f64 v[38:39], v[36:37], -2
	s_mov_b32 s1, 0x7ff00000
	v_fract_f64_e32 v[40:41], v[38:39]
	v_cmp_neq_f64_e64 vcc, |v[38:39]|, s[0:1]
	v_cndmask_b32_e32 v39, 0, v41, vcc
	v_cndmask_b32_e32 v38, 0, v40, vcc
	v_add_f64 v[40:41], v[34:35], -v[24:25]
	v_add_f64 v[30:31], v[30:31], -v[40:41]
	;; [unrolled: 1-line block ×4, first 2 shown]
	v_fma_f64 v[24:25], v[28:29], v[22:23], -v[24:25]
	v_mul_f64 v[28:29], v[26:27], v[22:23]
	v_add_f64 v[30:31], v[30:31], v[40:41]
	v_add_f64 v[40:41], v[28:29], v[24:25]
	;; [unrolled: 1-line block ×3, first 2 shown]
	v_add_f64 v[32:33], v[36:37], -v[32:33]
	v_add_f64 v[36:37], v[44:45], -v[40:41]
	;; [unrolled: 1-line block ×5, first 2 shown]
	v_add_f64 v[30:31], v[30:31], v[36:37]
	v_add_f64 v[36:37], v[40:41], -v[28:29]
	v_add_f64 v[24:25], v[24:25], -v[36:37]
	;; [unrolled: 1-line block ×4, first 2 shown]
	v_add_f64 v[24:25], v[24:25], v[36:37]
	v_add_f64 v[32:33], v[34:35], -v[32:33]
	v_add_f64 v[24:25], v[24:25], v[30:31]
	v_fma_f64 v[22:23], v[26:27], v[22:23], -v[28:29]
	v_add_f64 v[34:35], v[32:33], v[44:45]
	v_add_f64 v[22:23], v[22:23], v[24:25]
	v_ldexp_f64 v[24:25], v[38:39], 2
	v_add_f64 v[26:27], v[34:35], v[24:25]
	v_mov_b32_e32 v3, 0x40100000
	v_cmp_gt_f64_e32 vcc, 0, v[26:27]
	v_mov_b32_e32 v42, 0
	v_cndmask_b32_e32 v43, 0, v3, vcc
	v_add_f64 v[24:25], v[24:25], v[42:43]
	v_add_f64 v[26:27], v[34:35], v[24:25]
	v_cvt_i32_f64_e32 v3, v[26:27]
	v_cvt_f64_i32_e32 v[26:27], v3
	v_add_f64 v[24:25], v[24:25], -v[26:27]
	v_add_f64 v[32:33], v[34:35], -v[32:33]
	v_add_f64 v[26:27], v[34:35], v[24:25]
	v_add_f64 v[32:33], v[44:45], -v[32:33]
	v_add_f64 v[24:25], v[26:27], -v[24:25]
	v_cmp_le_f64_e32 vcc, 0.5, v[26:27]
	v_mov_b32_e32 v5, 0x3ff00000
	v_add_f64 v[22:23], v[32:33], v[22:23]
	v_add_f64 v[24:25], v[34:35], -v[24:25]
	v_cndmask_b32_e32 v43, 0, v5, vcc
	v_add_f64 v[22:23], v[22:23], v[24:25]
	v_addc_co_u32_e64 v3, s[0:1], 0, v3, vcc
	v_add_f64 v[24:25], v[26:27], -v[42:43]
	v_add_f64 v[26:27], v[24:25], v[22:23]
	s_mov_b32 s0, 0x54442d18
	v_add_f64 v[24:25], v[26:27], -v[24:25]
	s_mov_b32 s1, 0x3ff921fb
	v_add_f64 v[22:23], v[22:23], -v[24:25]
	v_mul_f64 v[24:25], v[26:27], s[0:1]
	s_mov_b32 s10, 0x33145c07
	v_fma_f64 v[28:29], v[26:27], s[0:1], -v[24:25]
	s_mov_b32 s11, 0x3c91a626
	v_fmac_f64_e32 v[28:29], s[10:11], v[26:27]
	v_fmac_f64_e32 v[28:29], s[0:1], v[22:23]
	v_add_f64 v[22:23], v[24:25], v[28:29]
	v_add_f64 v[24:25], v[22:23], -v[24:25]
	v_add_f64 v[24:25], v[28:29], -v[24:25]
	s_andn2_saveexec_b64 s[0:1], s[8:9]
	s_cbranch_execnz .LBB7_120
	s_branch .LBB7_121
.LBB7_119:
	s_andn2_saveexec_b64 s[0:1], s[8:9]
	s_cbranch_execz .LBB7_121
.LBB7_120:
	s_mov_b32 s8, 0x6dc9c883
	s_mov_b32 s9, 0x3fe45f30
	v_mul_f64 v[22:23], |v[12:13]|, s[8:9]
	s_mov_b32 s8, 0x54442d18
	v_rndne_f64_e32 v[26:27], v[22:23]
	s_mov_b32 s9, 0xbff921fb
	v_fma_f64 v[22:23], v[26:27], s[8:9], |v[12:13]|
	s_mov_b32 s9, 0xbc91a626
	s_mov_b32 s8, 0x33145c00
	v_mul_f64 v[28:29], v[26:27], s[8:9]
	v_add_f64 v[32:33], v[22:23], v[28:29]
	v_fma_f64 v[24:25], s[8:9], v[26:27], v[22:23]
	s_mov_b32 s9, 0x3c91a626
	v_add_f64 v[22:23], v[22:23], -v[32:33]
	v_fma_f64 v[30:31], s[8:9], v[26:27], v[28:29]
	v_add_f64 v[22:23], v[22:23], v[28:29]
	v_add_f64 v[28:29], v[32:33], -v[24:25]
	v_add_f64 v[22:23], v[28:29], v[22:23]
	s_mov_b32 s8, 0x252049c0
	v_add_f64 v[28:29], v[22:23], -v[30:31]
	s_mov_b32 s9, 0xb97b839a
	v_fmac_f64_e32 v[28:29], s[8:9], v[26:27]
	v_add_f64 v[22:23], v[24:25], v[28:29]
	v_add_f64 v[24:25], v[22:23], -v[24:25]
	v_add_f64 v[24:25], v[28:29], -v[24:25]
	v_cvt_i32_f64_e32 v3, v[26:27]
.LBB7_121:
	s_or_b64 exec, exec, s[0:1]
	s_mov_b32 s0, 0
	v_mul_f64 v[26:27], v[16:17], v[16:17]
	s_mov_b32 s1, 0x40390000
	v_div_scale_f64 v[28:29], s[8:9], v[26:27], v[26:27], s[0:1]
	v_rcp_f64_e32 v[30:31], v[28:29]
	v_mov_b32_e32 v36, 0x55b218cd
	v_mov_b32_e32 v37, 0xc049b48c
	s_mov_b32 s8, 0x46cc5e42
	v_fma_f64 v[32:33], -v[28:29], v[30:31], 1.0
	v_fmac_f64_e32 v[30:31], v[30:31], v[32:33]
	v_fma_f64 v[32:33], -v[28:29], v[30:31], 1.0
	v_fmac_f64_e32 v[30:31], v[30:31], v[32:33]
	v_div_scale_f64 v[32:33], vcc, s[0:1], v[26:27], s[0:1]
	v_mul_f64 v[34:35], v[32:33], v[30:31]
	v_fma_f64 v[28:29], -v[28:29], v[34:35], v[32:33]
	v_mov_b32_e32 v32, 0xab5454e3
	s_nop 0
	v_div_fmas_f64 v[28:29], v[28:29], v[30:31], v[34:35]
	v_div_fixup_f64 v[28:29], v[28:29], v[26:27], s[0:1]
	v_mov_b32_e32 v26, 0x983b6b27
	v_mov_b32_e32 v27, 0x3f4a1d30
	v_fmac_f64_e32 v[26:27], 0, v[28:29]
	v_mov_b32_e32 v30, 0xb35dd1cf
	v_mov_b32_e32 v31, 0x3fb534b0
	v_fmac_f64_e32 v[30:31], v[28:29], v[26:27]
	;; [unrolled: 3-line block ×7, first 2 shown]
	v_mov_b32_e32 v33, 0x3fb5ebc5
	v_fmac_f64_e32 v[32:33], v[28:29], v[26:27]
	v_mov_b32_e32 v26, 0xc9b3069f
	v_mov_b32_e32 v27, 0x3ff40e72
	v_fmac_f64_e32 v[26:27], v[28:29], v[32:33]
	v_mov_b32_e32 v32, 0xe68162bb
	;; [unrolled: 3-line block ×10, first 2 shown]
	v_mov_b32_e32 v35, 0xc062627a
	v_fmac_f64_e32 v[34:35], v[28:29], v[26:27]
	v_fmac_f64_e32 v[36:37], v[28:29], v[34:35]
	v_mov_b32_e32 v26, 0xd1b9a1dd
	v_mov_b32_e32 v27, 0xc0183358
	;; [unrolled: 1-line block ×4, first 2 shown]
	v_fmac_f64_e32 v[26:27], v[28:29], v[36:37]
	v_fmac_f64_e32 v[34:35], 0, v[28:29]
	v_mov_b32_e32 v36, 0xb1759c7f
	v_mov_b32_e32 v37, 0x408ac370
	v_fmac_f64_e32 v[36:37], v[28:29], v[34:35]
	v_mov_b32_e32 v34, 0xbd748cb5
	v_mov_b32_e32 v35, 0x40ae54cd
	;; [unrolled: 3-line block ×5, first 2 shown]
	v_fma_f64 v[32:33], v[28:29], v[32:33], 1.0
	v_fmac_f64_e32 v[36:37], v[28:29], v[34:35]
	v_fma_f64 v[34:35], v[28:29], v[30:31], 1.0
	v_div_scale_f64 v[38:39], s[0:1], v[32:33], v[32:33], v[34:35]
	v_rcp_f64_e32 v[40:41], v[38:39]
	v_mov_b32_e32 v30, 0x6280a54
	v_mov_b32_e32 v31, 0x406e402f
	v_fmac_f64_e32 v[30:31], v[28:29], v[36:37]
	v_fma_f64 v[28:29], -v[38:39], v[40:41], 1.0
	v_fmac_f64_e32 v[40:41], v[40:41], v[28:29]
	v_fma_f64 v[28:29], -v[38:39], v[40:41], 1.0
	v_fmac_f64_e32 v[40:41], v[40:41], v[28:29]
	v_div_scale_f64 v[28:29], vcc, v[34:35], v[32:33], v[34:35]
	v_mul_f64 v[36:37], v[28:29], v[40:41]
	v_fma_f64 v[28:29], -v[38:39], v[36:37], v[28:29]
	s_mov_b32 s0, 0x9037ab78
	s_nop 0
	v_div_fmas_f64 v[28:29], v[28:29], v[40:41], v[36:37]
	v_div_fixup_f64 v[28:29], v[28:29], v[32:33], v[34:35]
	v_mul_f64 v[34:35], v[18:19], v[18:19]
	v_mul_f64 v[32:33], v[34:35], 0.5
	v_add_f64 v[36:37], -v[32:33], 1.0
	v_add_f64 v[38:39], -v[36:37], 1.0
	s_mov_b32 s1, 0x3e21eeb6
	v_add_f64 v[38:39], v[38:39], -v[32:33]
	s_mov_b32 s9, 0xbda907db
	v_pk_mov_b32 v[32:33], s[0:1], s[0:1] op_sel:[0,1]
	s_mov_b32 s10, 0xa17f65f6
	v_fma_f64 v[42:43], s[8:9], v[34:35], v[32:33]
	s_mov_b32 s11, 0xbe927e4f
	s_mov_b32 s12, 0x19f4ec90
	v_fma_f64 v[42:43], v[34:35], v[42:43], s[10:11]
	s_mov_b32 s13, 0x3efa01a0
	;; [unrolled: 3-line block ×4, first 2 shown]
	v_mul_f64 v[40:41], v[34:35], v[34:35]
	v_fma_f64 v[42:43], v[34:35], v[42:43], s[16:17]
	v_fma_f64 v[38:39], v[18:19], -v[20:21], v[38:39]
	s_mov_b32 s0, 0xb42fdfa7
	v_fmac_f64_e32 v[38:39], v[40:41], v[42:43]
	s_mov_b32 s1, 0xbe5ae600
	s_mov_b32 s18, 0xf9a43bb8
	v_add_f64 v[36:37], v[36:37], v[38:39]
	s_mov_b32 s19, 0x3de5e0b2
	v_pk_mov_b32 v[38:39], s[0:1], s[0:1] op_sel:[0,1]
	s_mov_b32 s20, 0x796cde01
	v_fma_f64 v[40:41], s[18:19], v[34:35], v[38:39]
	s_mov_b32 s21, 0x3ec71de3
	s_mov_b32 s22, 0x19e83e5c
	v_fma_f64 v[40:41], v[34:35], v[40:41], s[20:21]
	s_mov_b32 s23, 0xbf2a01a0
	;; [unrolled: 3-line block ×3, first 2 shown]
	v_fma_f64 v[40:41], v[34:35], v[40:41], s[24:25]
	v_mul_f64 v[42:43], v[18:19], -v[34:35]
	v_mul_f64 v[44:45], v[20:21], 0.5
	v_fmac_f64_e32 v[44:45], v[42:43], v[40:41]
	v_fma_f64 v[20:21], v[34:35], v[44:45], -v[20:21]
	s_mov_b32 s27, 0xbfc55555
	s_mov_b32 s26, s16
	v_fmac_f64_e32 v[20:21], s[26:27], v[42:43]
	v_and_b32_e32 v7, 1, v1
	s_mov_b32 s28, 0
	v_add_f64 v[18:19], v[18:19], -v[20:21]
	v_cmp_eq_u32_e32 vcc, 0, v7
	s_mov_b32 s29, 0xc0140000
	v_xor_b32_e32 v5, 0x80000000, v19
	v_cndmask_b32_e32 v7, v18, v36, vcc
	v_div_scale_f64 v[18:19], s[0:1], v[16:17], v[16:17], s[28:29]
	v_rcp_f64_e32 v[20:21], v[18:19]
	v_cndmask_b32_e32 v5, v5, v37, vcc
	s_movk_i32 s30, 0x1f8
	v_cmp_class_f64_e64 s[0:1], v[12:13], s30
	v_fma_f64 v[36:37], -v[18:19], v[20:21], 1.0
	v_fmac_f64_e32 v[20:21], v[20:21], v[36:37]
	v_fma_f64 v[36:37], -v[18:19], v[20:21], 1.0
	v_fmac_f64_e32 v[20:21], v[20:21], v[36:37]
	v_div_scale_f64 v[36:37], vcc, s[28:29], v[16:17], s[28:29]
	v_mul_f64 v[40:41], v[36:37], v[20:21]
	v_fma_f64 v[18:19], -v[18:19], v[40:41], v[36:37]
	v_div_scale_f64 v[36:37], s[30:31], v[30:31], v[30:31], v[26:27]
	v_rcp_f64_e32 v[42:43], v[36:37]
	v_div_fmas_f64 v[18:19], v[18:19], v[20:21], v[40:41]
	v_div_fixup_f64 v[18:19], v[18:19], v[16:17], s[28:29]
	v_lshlrev_b32_e32 v1, 30, v1
	v_fma_f64 v[20:21], -v[36:37], v[42:43], 1.0
	v_fmac_f64_e32 v[42:43], v[42:43], v[20:21]
	v_fma_f64 v[20:21], -v[36:37], v[42:43], 1.0
	v_fmac_f64_e32 v[42:43], v[42:43], v[20:21]
	v_div_scale_f64 v[20:21], vcc, v[26:27], v[30:31], v[26:27]
	v_mul_f64 v[40:41], v[20:21], v[42:43]
	v_fma_f64 v[20:21], -v[36:37], v[40:41], v[20:21]
	v_and_b32_e32 v1, 0x80000000, v1
	s_nop 0
	v_div_fmas_f64 v[20:21], v[20:21], v[42:43], v[40:41]
	v_div_fixup_f64 v[20:21], v[20:21], v[30:31], v[26:27]
	v_mul_f64 v[18:19], v[18:19], v[20:21]
	v_mul_f64 v[20:21], v[22:23], v[22:23]
	v_mul_f64 v[26:27], v[20:21], 0.5
	v_fmac_f64_e32 v[32:33], s[8:9], v[20:21]
	v_add_f64 v[30:31], -v[26:27], 1.0
	v_fma_f64 v[32:33], v[20:21], v[32:33], s[10:11]
	v_add_f64 v[36:37], -v[30:31], 1.0
	v_fma_f64 v[32:33], v[20:21], v[32:33], s[12:13]
	v_add_f64 v[26:27], v[36:37], -v[26:27]
	v_fma_f64 v[32:33], v[20:21], v[32:33], s[14:15]
	v_mul_f64 v[36:37], v[20:21], v[20:21]
	v_fma_f64 v[32:33], v[20:21], v[32:33], s[16:17]
	v_fma_f64 v[26:27], v[22:23], -v[24:25], v[26:27]
	v_fmac_f64_e32 v[26:27], v[36:37], v[32:33]
	v_fmac_f64_e32 v[38:39], s[18:19], v[20:21]
	v_add_f64 v[26:27], v[30:31], v[26:27]
	v_fma_f64 v[30:31], v[20:21], v[38:39], s[20:21]
	v_fma_f64 v[30:31], v[20:21], v[30:31], s[22:23]
	;; [unrolled: 1-line block ×3, first 2 shown]
	v_mul_f64 v[32:33], v[22:23], -v[20:21]
	v_mul_f64 v[36:37], v[24:25], 0.5
	v_fmac_f64_e32 v[36:37], v[32:33], v[30:31]
	v_xor_b32_e32 v1, v5, v1
	v_mov_b32_e32 v5, 0x7ff80000
	v_fma_f64 v[20:21], v[20:21], v[36:37], -v[24:25]
	v_cndmask_b32_e64 v35, v5, v1, s[0:1]
	v_fmac_f64_e32 v[20:21], s[26:27], v[32:33]
	v_and_b32_e32 v1, 1, v3
	v_lshlrev_b32_e32 v3, 30, v3
	v_add_f64 v[20:21], v[22:23], -v[20:21]
	v_cmp_eq_u32_e32 vcc, 0, v1
	v_xor_b32_e32 v3, v3, v13
	v_cndmask_b32_e64 v34, 0, v7, s[0:1]
	v_cndmask_b32_e32 v7, v27, v21, vcc
	v_and_b32_e32 v3, 0x80000000, v3
	v_cndmask_b32_e32 v1, v26, v20, vcc
	v_xor_b32_e32 v3, v7, v3
	v_cndmask_b32_e64 v12, 0, v1, s[0:1]
	v_cndmask_b32_e64 v13, v5, v3, s[0:1]
	s_mov_b32 s0, 0
	s_brev_b32 s1, 8
	v_cmp_gt_f64_e32 vcc, s[0:1], v[16:17]
	v_cndmask_b32_e64 v1, 0, 1, vcc
	v_lshlrev_b32_e32 v1, 8, v1
	v_ldexp_f64 v[16:17], v[16:17], v1
	v_mul_f64 v[12:13], v[18:19], v[12:13]
	v_rsq_f64_e32 v[18:19], v[16:17]
	v_mov_b32_e32 v1, 0xffffff80
	v_cndmask_b32_e32 v1, 0, v1, vcc
	s_mov_b32 s0, 0x33d43651
	v_mul_f64 v[20:21], v[16:17], v[18:19]
	v_mul_f64 v[18:19], v[18:19], 0.5
	v_fma_f64 v[22:23], -v[18:19], v[20:21], 0.5
	v_fmac_f64_e32 v[20:21], v[20:21], v[22:23]
	v_fma_f64 v[24:25], -v[20:21], v[20:21], v[16:17]
	v_fmac_f64_e32 v[18:19], v[18:19], v[22:23]
	v_fmac_f64_e32 v[20:21], v[24:25], v[18:19]
	v_fma_f64 v[22:23], -v[20:21], v[20:21], v[16:17]
	v_fmac_f64_e32 v[20:21], v[22:23], v[18:19]
	v_ldexp_f64 v[18:19], v[20:21], v1
	v_mov_b32_e32 v1, 0x260
	v_fmac_f64_e32 v[12:13], v[28:29], v[34:35]
	s_mov_b32 s1, 0x3fe98845
	v_cmp_class_f64_e32 vcc, v[16:17], v1
	v_mul_f64 v[12:13], v[12:13], s[0:1]
	v_cndmask_b32_e32 v17, v19, v17, vcc
	v_cndmask_b32_e32 v16, v18, v16, vcc
	v_div_scale_f64 v[18:19], s[0:1], v[16:17], v[16:17], v[12:13]
	v_rcp_f64_e32 v[20:21], v[18:19]
	v_fma_f64 v[22:23], -v[18:19], v[20:21], 1.0
	v_fmac_f64_e32 v[20:21], v[20:21], v[22:23]
	v_fma_f64 v[22:23], -v[18:19], v[20:21], 1.0
	v_fmac_f64_e32 v[20:21], v[20:21], v[22:23]
	v_div_scale_f64 v[22:23], vcc, v[12:13], v[16:17], v[12:13]
	v_mul_f64 v[24:25], v[22:23], v[20:21]
	v_fma_f64 v[18:19], -v[18:19], v[24:25], v[22:23]
	s_nop 1
	v_div_fmas_f64 v[18:19], v[18:19], v[20:21], v[24:25]
	v_div_fixup_f64 v[12:13], v[18:19], v[16:17], v[12:13]
.LBB7_122:
	s_or_b64 exec, exec, s[2:3]
	global_load_dwordx2 v[8:9], v8, s[6:7]
	s_mov_b32 s0, 0
	s_mov_b32 s1, 0x40140000
                                        ; implicit-def: $vgpr16_vgpr17
	s_waitcnt vmcnt(0)
	v_xor_b32_e32 v1, 0x80000000, v9
	v_cmp_gt_f64_e32 vcc, 0, v[8:9]
	v_cndmask_b32_e32 v9, v9, v1, vcc
	v_cndmask_b32_e32 v8, v8, v8, vcc
	v_cmp_ge_f64_e32 vcc, s[0:1], v[8:9]
	s_and_saveexec_b64 s[0:1], vcc
	s_xor_b64 s[0:1], exec, s[0:1]
	s_cbranch_execz .LBB7_128
; %bb.123:
	s_mov_b32 s2, 0x88e368f1
	s_mov_b32 s3, 0x3ee4f8b5
	v_cmp_ngt_f64_e32 vcc, s[2:3], v[8:9]
	v_mul_f64 v[8:9], v[8:9], v[8:9]
                                        ; implicit-def: $vgpr16_vgpr17
	s_and_saveexec_b64 s[2:3], vcc
	s_xor_b64 s[2:3], exec, s[2:3]
	s_cbranch_execz .LBB7_125
; %bb.124:
	v_mov_b32_e32 v16, 0xad1c8325
	v_mov_b32_e32 v17, 0xc1f1dc53
	v_fmac_f64_e32 v[16:17], 0, v[8:9]
	v_mov_b32_e32 v18, 0xc772990d
	v_mov_b32_e32 v19, 0x427c7751
	v_fmac_f64_e32 v[18:19], v[8:9], v[16:17]
	;; [unrolled: 3-line block ×10, first 2 shown]
	v_mov_b32_e32 v20, 0xc7b662cc
	v_mov_b32_e32 v21, 0x43b7be34
	s_mov_b32 s6, 0x80462bbb
	v_fmac_f64_e32 v[20:21], v[8:9], v[18:19]
	v_mov_b32_e32 v18, 0x69ff5fb4
	v_mov_b32_e32 v19, 0x43413ef8
	s_mov_b32 s7, 0xc01721fb
	v_fmac_f64_e32 v[18:19], v[8:9], v[16:17]
	v_add_f64 v[16:17], v[8:9], s[6:7]
	s_mov_b32 s6, 0xa621dd6f
	s_mov_b32 s7, 0xc03e78a4
	v_add_f64 v[8:9], v[8:9], s[6:7]
	v_mul_f64 v[8:9], v[16:17], v[8:9]
	v_mul_f64 v[8:9], v[8:9], v[18:19]
	v_div_scale_f64 v[16:17], s[6:7], v[20:21], v[20:21], v[8:9]
	v_rcp_f64_e32 v[18:19], v[16:17]
	v_fma_f64 v[22:23], -v[16:17], v[18:19], 1.0
	v_fmac_f64_e32 v[18:19], v[18:19], v[22:23]
	v_fma_f64 v[22:23], -v[16:17], v[18:19], 1.0
	v_fmac_f64_e32 v[18:19], v[18:19], v[22:23]
	v_div_scale_f64 v[22:23], vcc, v[8:9], v[20:21], v[8:9]
	v_mul_f64 v[24:25], v[22:23], v[18:19]
	v_fma_f64 v[16:17], -v[16:17], v[24:25], v[22:23]
	s_nop 1
	v_div_fmas_f64 v[16:17], v[16:17], v[18:19], v[24:25]
	v_div_fixup_f64 v[16:17], v[16:17], v[20:21], v[8:9]
                                        ; implicit-def: $vgpr8_vgpr9
.LBB7_125:
	s_andn2_saveexec_b64 s[2:3], s[2:3]
; %bb.126:
	s_mov_b32 s6, 0
	s_mov_b32 s7, 0xbfd00000
	v_fma_f64 v[16:17], v[8:9], s[6:7], 1.0
; %bb.127:
	s_or_b64 exec, exec, s[2:3]
                                        ; implicit-def: $vgpr8_vgpr9
.LBB7_128:
	s_andn2_saveexec_b64 s[2:3], s[0:1]
	s_cbranch_execz .LBB7_138
; %bb.129:
	s_mov_b32 s9, 0xbfe921fb
	s_mov_b32 s8, 0x54442d18
	s_mov_b32 s0, 0
	v_add_f64 v[16:17], v[8:9], s[8:9]
	s_mov_b32 s1, 0x41d00000
	v_cmp_nlt_f64_e64 s[6:7], |v[16:17]|, s[0:1]
	v_trig_preop_f64 v[30:31], |v[16:17]|, 0
	v_trig_preop_f64 v[28:29], |v[16:17]|, 1
	v_trig_preop_f64 v[26:27], |v[16:17]|, 2
                                        ; implicit-def: $vgpr1
                                        ; implicit-def: $vgpr18_vgpr19
                                        ; implicit-def: $vgpr20_vgpr21
	s_and_saveexec_b64 s[0:1], s[6:7]
	s_xor_b64 s[10:11], exec, s[0:1]
	s_cbranch_execz .LBB7_131
; %bb.130:
	s_mov_b32 s0, 0
	s_mov_b32 s1, 0x7b000000
	s_movk_i32 s9, 0xff80
	v_and_b32_e32 v1, 0x7fffffff, v17
	v_ldexp_f64 v[18:19], |v[16:17]|, s9
	v_cmp_ge_f64_e64 vcc, |v[16:17]|, s[0:1]
	v_cndmask_b32_e32 v19, v1, v19, vcc
	v_cndmask_b32_e32 v18, v16, v18, vcc
	v_mul_f64 v[22:23], v[30:31], v[18:19]
	v_mul_f64 v[20:21], v[28:29], v[18:19]
	v_fma_f64 v[24:25], v[30:31], v[18:19], -v[22:23]
	v_add_f64 v[32:33], v[20:21], v[24:25]
	v_add_f64 v[34:35], v[22:23], v[32:33]
	s_mov_b32 s0, 0
	v_ldexp_f64 v[36:37], v[34:35], -2
	s_mov_b32 s1, 0x7ff00000
	v_fract_f64_e32 v[38:39], v[36:37]
	v_cmp_neq_f64_e64 vcc, |v[36:37]|, s[0:1]
	v_cndmask_b32_e32 v37, 0, v39, vcc
	v_cndmask_b32_e32 v36, 0, v38, vcc
	v_add_f64 v[38:39], v[32:33], -v[20:21]
	v_add_f64 v[24:25], v[24:25], -v[38:39]
	;; [unrolled: 1-line block ×4, first 2 shown]
	v_add_f64 v[24:25], v[24:25], v[38:39]
	v_fma_f64 v[20:21], v[28:29], v[18:19], -v[20:21]
	v_mul_f64 v[38:39], v[26:27], v[18:19]
	v_add_f64 v[42:43], v[38:39], v[20:21]
	v_add_f64 v[44:45], v[42:43], v[24:25]
	v_add_f64 v[22:23], v[34:35], -v[22:23]
	v_add_f64 v[34:35], v[44:45], -v[42:43]
	;; [unrolled: 1-line block ×5, first 2 shown]
	v_add_f64 v[24:25], v[24:25], v[34:35]
	v_add_f64 v[34:35], v[42:43], -v[38:39]
	v_add_f64 v[20:21], v[20:21], -v[34:35]
	v_add_f64 v[34:35], v[42:43], -v[34:35]
	v_add_f64 v[22:23], v[32:33], -v[22:23]
	v_add_f64 v[34:35], v[38:39], -v[34:35]
	v_add_f64 v[32:33], v[22:23], v[44:45]
	v_add_f64 v[20:21], v[20:21], v[34:35]
	v_add_f64 v[22:23], v[32:33], -v[22:23]
	v_add_f64 v[20:21], v[20:21], v[24:25]
	v_fma_f64 v[18:19], v[26:27], v[18:19], -v[38:39]
	v_add_f64 v[22:23], v[44:45], -v[22:23]
	v_add_f64 v[18:19], v[18:19], v[20:21]
	v_ldexp_f64 v[20:21], v[36:37], 2
	v_add_f64 v[18:19], v[22:23], v[18:19]
	v_add_f64 v[22:23], v[32:33], v[20:21]
	v_mov_b32_e32 v1, 0x40100000
	v_cmp_gt_f64_e32 vcc, 0, v[22:23]
	v_mov_b32_e32 v40, 0
	v_cndmask_b32_e32 v41, 0, v1, vcc
	v_add_f64 v[20:21], v[20:21], v[40:41]
	v_add_f64 v[22:23], v[32:33], v[20:21]
	v_cvt_i32_f64_e32 v1, v[22:23]
	v_cvt_f64_i32_e32 v[22:23], v1
	v_add_f64 v[20:21], v[20:21], -v[22:23]
	v_add_f64 v[22:23], v[32:33], v[20:21]
	v_add_f64 v[20:21], v[22:23], -v[20:21]
	v_cmp_le_f64_e32 vcc, 0.5, v[22:23]
	v_mov_b32_e32 v3, 0x3ff00000
	v_add_f64 v[20:21], v[32:33], -v[20:21]
	v_cndmask_b32_e32 v41, 0, v3, vcc
	v_add_f64 v[18:19], v[18:19], v[20:21]
	v_add_f64 v[20:21], v[22:23], -v[40:41]
	v_add_f64 v[22:23], v[20:21], v[18:19]
	v_addc_co_u32_e64 v1, s[0:1], 0, v1, vcc
	v_add_f64 v[20:21], v[22:23], -v[20:21]
	s_mov_b32 s9, 0x3ff921fb
	v_add_f64 v[18:19], v[18:19], -v[20:21]
	v_mul_f64 v[20:21], v[22:23], s[8:9]
	s_mov_b32 s0, 0x33145c07
	v_fma_f64 v[24:25], v[22:23], s[8:9], -v[20:21]
	s_mov_b32 s1, 0x3c91a626
	v_fmac_f64_e32 v[24:25], s[0:1], v[22:23]
	v_fmac_f64_e32 v[24:25], s[8:9], v[18:19]
	v_add_f64 v[18:19], v[20:21], v[24:25]
	v_add_f64 v[20:21], v[18:19], -v[20:21]
	v_add_f64 v[20:21], v[24:25], -v[20:21]
	s_andn2_saveexec_b64 s[0:1], s[10:11]
	s_cbranch_execz .LBB7_133
	s_branch .LBB7_132
.LBB7_131:
	s_andn2_saveexec_b64 s[0:1], s[10:11]
	s_cbranch_execz .LBB7_133
.LBB7_132:
	s_mov_b32 s8, 0x6dc9c883
	s_mov_b32 s9, 0x3fe45f30
	v_mul_f64 v[18:19], |v[16:17]|, s[8:9]
	s_mov_b32 s8, 0x54442d18
	v_rndne_f64_e32 v[22:23], v[18:19]
	s_mov_b32 s9, 0xbff921fb
	v_fma_f64 v[18:19], v[22:23], s[8:9], |v[16:17]|
	s_mov_b32 s9, 0xbc91a626
	s_mov_b32 s8, 0x33145c00
	v_mul_f64 v[24:25], v[22:23], s[8:9]
	v_add_f64 v[34:35], v[18:19], v[24:25]
	v_fma_f64 v[20:21], s[8:9], v[22:23], v[18:19]
	s_mov_b32 s9, 0x3c91a626
	v_add_f64 v[18:19], v[18:19], -v[34:35]
	v_fma_f64 v[32:33], s[8:9], v[22:23], v[24:25]
	v_add_f64 v[18:19], v[18:19], v[24:25]
	v_add_f64 v[24:25], v[34:35], -v[20:21]
	v_add_f64 v[18:19], v[24:25], v[18:19]
	s_mov_b32 s8, 0x252049c0
	v_add_f64 v[24:25], v[18:19], -v[32:33]
	s_mov_b32 s9, 0xb97b839a
	v_fmac_f64_e32 v[24:25], s[8:9], v[22:23]
	v_add_f64 v[18:19], v[20:21], v[24:25]
	v_add_f64 v[20:21], v[18:19], -v[20:21]
	v_add_f64 v[20:21], v[24:25], -v[20:21]
	v_cvt_i32_f64_e32 v1, v[22:23]
.LBB7_133:
	s_or_b64 exec, exec, s[0:1]
                                        ; implicit-def: $vgpr3
                                        ; implicit-def: $vgpr22_vgpr23
                                        ; implicit-def: $vgpr24_vgpr25
	s_and_saveexec_b64 s[0:1], s[6:7]
	s_xor_b64 s[6:7], exec, s[0:1]
	s_cbranch_execz .LBB7_135
; %bb.134:
	s_mov_b32 s0, 0
	s_mov_b32 s1, 0x7b000000
	s_movk_i32 s8, 0xff80
	v_and_b32_e32 v3, 0x7fffffff, v17
	v_ldexp_f64 v[22:23], |v[16:17]|, s8
	v_cmp_ge_f64_e64 vcc, |v[16:17]|, s[0:1]
	v_cndmask_b32_e32 v23, v3, v23, vcc
	v_cndmask_b32_e32 v22, v16, v22, vcc
	v_mul_f64 v[32:33], v[30:31], v[22:23]
	v_mul_f64 v[24:25], v[28:29], v[22:23]
	v_fma_f64 v[30:31], v[30:31], v[22:23], -v[32:33]
	v_add_f64 v[34:35], v[24:25], v[30:31]
	v_add_f64 v[36:37], v[32:33], v[34:35]
	s_mov_b32 s0, 0
	v_ldexp_f64 v[38:39], v[36:37], -2
	s_mov_b32 s1, 0x7ff00000
	v_fract_f64_e32 v[40:41], v[38:39]
	v_cmp_neq_f64_e64 vcc, |v[38:39]|, s[0:1]
	v_cndmask_b32_e32 v39, 0, v41, vcc
	v_cndmask_b32_e32 v38, 0, v40, vcc
	v_add_f64 v[40:41], v[34:35], -v[24:25]
	v_add_f64 v[30:31], v[30:31], -v[40:41]
	;; [unrolled: 1-line block ×4, first 2 shown]
	v_fma_f64 v[24:25], v[28:29], v[22:23], -v[24:25]
	v_mul_f64 v[28:29], v[26:27], v[22:23]
	v_add_f64 v[30:31], v[30:31], v[40:41]
	v_add_f64 v[40:41], v[28:29], v[24:25]
	;; [unrolled: 1-line block ×3, first 2 shown]
	v_add_f64 v[32:33], v[36:37], -v[32:33]
	v_add_f64 v[36:37], v[44:45], -v[40:41]
	;; [unrolled: 1-line block ×5, first 2 shown]
	v_add_f64 v[30:31], v[30:31], v[36:37]
	v_add_f64 v[36:37], v[40:41], -v[28:29]
	v_add_f64 v[24:25], v[24:25], -v[36:37]
	v_add_f64 v[36:37], v[40:41], -v[36:37]
	v_add_f64 v[36:37], v[28:29], -v[36:37]
	v_add_f64 v[24:25], v[24:25], v[36:37]
	v_add_f64 v[32:33], v[34:35], -v[32:33]
	v_add_f64 v[24:25], v[24:25], v[30:31]
	v_fma_f64 v[22:23], v[26:27], v[22:23], -v[28:29]
	v_add_f64 v[34:35], v[32:33], v[44:45]
	v_add_f64 v[22:23], v[22:23], v[24:25]
	v_ldexp_f64 v[24:25], v[38:39], 2
	v_add_f64 v[26:27], v[34:35], v[24:25]
	v_mov_b32_e32 v3, 0x40100000
	v_cmp_gt_f64_e32 vcc, 0, v[26:27]
	v_mov_b32_e32 v42, 0
	v_cndmask_b32_e32 v43, 0, v3, vcc
	v_add_f64 v[24:25], v[24:25], v[42:43]
	v_add_f64 v[26:27], v[34:35], v[24:25]
	v_cvt_i32_f64_e32 v3, v[26:27]
	v_cvt_f64_i32_e32 v[26:27], v3
	v_add_f64 v[24:25], v[24:25], -v[26:27]
	v_add_f64 v[32:33], v[34:35], -v[32:33]
	v_add_f64 v[26:27], v[34:35], v[24:25]
	v_add_f64 v[32:33], v[44:45], -v[32:33]
	v_add_f64 v[24:25], v[26:27], -v[24:25]
	v_cmp_le_f64_e32 vcc, 0.5, v[26:27]
	v_mov_b32_e32 v5, 0x3ff00000
	v_add_f64 v[22:23], v[32:33], v[22:23]
	v_add_f64 v[24:25], v[34:35], -v[24:25]
	v_cndmask_b32_e32 v43, 0, v5, vcc
	v_add_f64 v[22:23], v[22:23], v[24:25]
	v_addc_co_u32_e64 v3, s[0:1], 0, v3, vcc
	v_add_f64 v[24:25], v[26:27], -v[42:43]
	v_add_f64 v[26:27], v[24:25], v[22:23]
	s_mov_b32 s0, 0x54442d18
	v_add_f64 v[24:25], v[26:27], -v[24:25]
	s_mov_b32 s1, 0x3ff921fb
	v_add_f64 v[22:23], v[22:23], -v[24:25]
	v_mul_f64 v[24:25], v[26:27], s[0:1]
	s_mov_b32 s8, 0x33145c07
	v_fma_f64 v[28:29], v[26:27], s[0:1], -v[24:25]
	s_mov_b32 s9, 0x3c91a626
	v_fmac_f64_e32 v[28:29], s[8:9], v[26:27]
	v_fmac_f64_e32 v[28:29], s[0:1], v[22:23]
	v_add_f64 v[22:23], v[24:25], v[28:29]
	v_add_f64 v[24:25], v[22:23], -v[24:25]
	v_add_f64 v[24:25], v[28:29], -v[24:25]
	s_andn2_saveexec_b64 s[0:1], s[6:7]
	s_cbranch_execnz .LBB7_136
	s_branch .LBB7_137
.LBB7_135:
	s_andn2_saveexec_b64 s[0:1], s[6:7]
	s_cbranch_execz .LBB7_137
.LBB7_136:
	s_mov_b32 s6, 0x6dc9c883
	s_mov_b32 s7, 0x3fe45f30
	v_mul_f64 v[22:23], |v[16:17]|, s[6:7]
	s_mov_b32 s6, 0x54442d18
	v_rndne_f64_e32 v[26:27], v[22:23]
	s_mov_b32 s7, 0xbff921fb
	v_fma_f64 v[22:23], v[26:27], s[6:7], |v[16:17]|
	s_mov_b32 s7, 0xbc91a626
	s_mov_b32 s6, 0x33145c00
	v_mul_f64 v[28:29], v[26:27], s[6:7]
	v_add_f64 v[32:33], v[22:23], v[28:29]
	v_fma_f64 v[24:25], s[6:7], v[26:27], v[22:23]
	s_mov_b32 s7, 0x3c91a626
	v_add_f64 v[22:23], v[22:23], -v[32:33]
	v_fma_f64 v[30:31], s[6:7], v[26:27], v[28:29]
	v_add_f64 v[22:23], v[22:23], v[28:29]
	v_add_f64 v[28:29], v[32:33], -v[24:25]
	v_add_f64 v[22:23], v[28:29], v[22:23]
	s_mov_b32 s6, 0x252049c0
	v_add_f64 v[28:29], v[22:23], -v[30:31]
	s_mov_b32 s7, 0xb97b839a
	v_fmac_f64_e32 v[28:29], s[6:7], v[26:27]
	v_add_f64 v[22:23], v[24:25], v[28:29]
	v_add_f64 v[24:25], v[22:23], -v[24:25]
	v_add_f64 v[24:25], v[28:29], -v[24:25]
	v_cvt_i32_f64_e32 v3, v[26:27]
.LBB7_137:
	s_or_b64 exec, exec, s[0:1]
	s_mov_b32 s0, 0
	v_mul_f64 v[26:27], v[8:9], v[8:9]
	s_mov_b32 s1, 0x40390000
	v_div_scale_f64 v[28:29], s[6:7], v[26:27], v[26:27], s[0:1]
	v_rcp_f64_e32 v[30:31], v[28:29]
	v_mov_b32_e32 v36, 0x55b218cd
	v_mov_b32_e32 v37, 0xc049b48c
	s_mov_b32 s6, 0x46cc5e42
	v_fma_f64 v[32:33], -v[28:29], v[30:31], 1.0
	v_fmac_f64_e32 v[30:31], v[30:31], v[32:33]
	v_fma_f64 v[32:33], -v[28:29], v[30:31], 1.0
	v_fmac_f64_e32 v[30:31], v[30:31], v[32:33]
	v_div_scale_f64 v[32:33], vcc, s[0:1], v[26:27], s[0:1]
	v_mul_f64 v[34:35], v[32:33], v[30:31]
	v_fma_f64 v[28:29], -v[28:29], v[34:35], v[32:33]
	v_mov_b32_e32 v32, 0xab5454e3
	s_nop 0
	v_div_fmas_f64 v[28:29], v[28:29], v[30:31], v[34:35]
	v_div_fixup_f64 v[28:29], v[28:29], v[26:27], s[0:1]
	v_mov_b32_e32 v26, 0x983b6b27
	v_mov_b32_e32 v27, 0x3f4a1d30
	v_fmac_f64_e32 v[26:27], 0, v[28:29]
	v_mov_b32_e32 v30, 0xb35dd1cf
	v_mov_b32_e32 v31, 0x3fb534b0
	v_fmac_f64_e32 v[30:31], v[28:29], v[26:27]
	;; [unrolled: 3-line block ×7, first 2 shown]
	v_mov_b32_e32 v33, 0x3fb5ebc5
	v_fmac_f64_e32 v[32:33], v[28:29], v[26:27]
	v_mov_b32_e32 v26, 0xc9b3069f
	v_mov_b32_e32 v27, 0x3ff40e72
	v_fmac_f64_e32 v[26:27], v[28:29], v[32:33]
	v_mov_b32_e32 v32, 0xe68162bb
	;; [unrolled: 3-line block ×10, first 2 shown]
	v_mov_b32_e32 v35, 0xc062627a
	v_fmac_f64_e32 v[34:35], v[28:29], v[26:27]
	v_fmac_f64_e32 v[36:37], v[28:29], v[34:35]
	v_mov_b32_e32 v26, 0xd1b9a1dd
	v_mov_b32_e32 v27, 0xc0183358
	;; [unrolled: 1-line block ×4, first 2 shown]
	v_fmac_f64_e32 v[26:27], v[28:29], v[36:37]
	v_fmac_f64_e32 v[34:35], 0, v[28:29]
	v_mov_b32_e32 v36, 0xb1759c7f
	v_mov_b32_e32 v37, 0x408ac370
	v_fmac_f64_e32 v[36:37], v[28:29], v[34:35]
	v_mov_b32_e32 v34, 0xbd748cb5
	v_mov_b32_e32 v35, 0x40ae54cd
	;; [unrolled: 3-line block ×5, first 2 shown]
	v_fma_f64 v[32:33], v[28:29], v[32:33], 1.0
	v_fmac_f64_e32 v[36:37], v[28:29], v[34:35]
	v_fma_f64 v[34:35], v[28:29], v[30:31], 1.0
	v_div_scale_f64 v[38:39], s[0:1], v[32:33], v[32:33], v[34:35]
	v_rcp_f64_e32 v[40:41], v[38:39]
	v_mov_b32_e32 v30, 0x6280a54
	v_mov_b32_e32 v31, 0x406e402f
	v_fmac_f64_e32 v[30:31], v[28:29], v[36:37]
	v_fma_f64 v[28:29], -v[38:39], v[40:41], 1.0
	v_fmac_f64_e32 v[40:41], v[40:41], v[28:29]
	v_fma_f64 v[28:29], -v[38:39], v[40:41], 1.0
	v_fmac_f64_e32 v[40:41], v[40:41], v[28:29]
	v_div_scale_f64 v[28:29], vcc, v[34:35], v[32:33], v[34:35]
	v_mul_f64 v[36:37], v[28:29], v[40:41]
	v_fma_f64 v[28:29], -v[38:39], v[36:37], v[28:29]
	s_mov_b32 s0, 0x9037ab78
	s_nop 0
	v_div_fmas_f64 v[28:29], v[28:29], v[40:41], v[36:37]
	v_div_fixup_f64 v[28:29], v[28:29], v[32:33], v[34:35]
	v_mul_f64 v[34:35], v[18:19], v[18:19]
	v_mul_f64 v[32:33], v[34:35], 0.5
	v_add_f64 v[36:37], -v[32:33], 1.0
	v_add_f64 v[38:39], -v[36:37], 1.0
	s_mov_b32 s1, 0x3e21eeb6
	v_add_f64 v[38:39], v[38:39], -v[32:33]
	s_mov_b32 s7, 0xbda907db
	v_pk_mov_b32 v[32:33], s[0:1], s[0:1] op_sel:[0,1]
	s_mov_b32 s8, 0xa17f65f6
	v_fma_f64 v[42:43], s[6:7], v[34:35], v[32:33]
	s_mov_b32 s9, 0xbe927e4f
	s_mov_b32 s10, 0x19f4ec90
	v_fma_f64 v[42:43], v[34:35], v[42:43], s[8:9]
	s_mov_b32 s11, 0x3efa01a0
	;; [unrolled: 3-line block ×4, first 2 shown]
	v_mul_f64 v[40:41], v[34:35], v[34:35]
	v_fma_f64 v[42:43], v[34:35], v[42:43], s[14:15]
	v_fma_f64 v[38:39], v[18:19], -v[20:21], v[38:39]
	s_mov_b32 s0, 0xb42fdfa7
	v_fmac_f64_e32 v[38:39], v[40:41], v[42:43]
	s_mov_b32 s1, 0xbe5ae600
	s_mov_b32 s16, 0xf9a43bb8
	v_add_f64 v[36:37], v[36:37], v[38:39]
	s_mov_b32 s17, 0x3de5e0b2
	v_pk_mov_b32 v[38:39], s[0:1], s[0:1] op_sel:[0,1]
	s_mov_b32 s18, 0x796cde01
	v_fma_f64 v[40:41], s[16:17], v[34:35], v[38:39]
	s_mov_b32 s19, 0x3ec71de3
	s_mov_b32 s20, 0x19e83e5c
	v_fma_f64 v[40:41], v[34:35], v[40:41], s[18:19]
	s_mov_b32 s21, 0xbf2a01a0
	;; [unrolled: 3-line block ×3, first 2 shown]
	v_fma_f64 v[40:41], v[34:35], v[40:41], s[22:23]
	v_mul_f64 v[42:43], v[18:19], -v[34:35]
	v_mul_f64 v[44:45], v[20:21], 0.5
	v_fmac_f64_e32 v[44:45], v[42:43], v[40:41]
	v_fma_f64 v[20:21], v[34:35], v[44:45], -v[20:21]
	s_mov_b32 s25, 0xbfc55555
	s_mov_b32 s24, s14
	v_fmac_f64_e32 v[20:21], s[24:25], v[42:43]
	v_and_b32_e32 v7, 1, v1
	s_mov_b32 s26, 0
	v_add_f64 v[18:19], v[18:19], -v[20:21]
	v_cmp_eq_u32_e32 vcc, 0, v7
	s_mov_b32 s27, 0xc0140000
	v_xor_b32_e32 v5, 0x80000000, v19
	v_cndmask_b32_e32 v7, v18, v36, vcc
	v_div_scale_f64 v[18:19], s[0:1], v[8:9], v[8:9], s[26:27]
	v_rcp_f64_e32 v[20:21], v[18:19]
	v_cndmask_b32_e32 v5, v5, v37, vcc
	s_movk_i32 s28, 0x1f8
	v_cmp_class_f64_e64 s[0:1], v[16:17], s28
	v_fma_f64 v[36:37], -v[18:19], v[20:21], 1.0
	v_fmac_f64_e32 v[20:21], v[20:21], v[36:37]
	v_fma_f64 v[36:37], -v[18:19], v[20:21], 1.0
	v_fmac_f64_e32 v[20:21], v[20:21], v[36:37]
	v_div_scale_f64 v[36:37], vcc, s[26:27], v[8:9], s[26:27]
	v_mul_f64 v[40:41], v[36:37], v[20:21]
	v_fma_f64 v[18:19], -v[18:19], v[40:41], v[36:37]
	v_div_scale_f64 v[36:37], s[28:29], v[30:31], v[30:31], v[26:27]
	v_rcp_f64_e32 v[42:43], v[36:37]
	v_div_fmas_f64 v[18:19], v[18:19], v[20:21], v[40:41]
	v_div_fixup_f64 v[18:19], v[18:19], v[8:9], s[26:27]
	v_lshlrev_b32_e32 v1, 30, v1
	v_fma_f64 v[20:21], -v[36:37], v[42:43], 1.0
	v_fmac_f64_e32 v[42:43], v[42:43], v[20:21]
	v_fma_f64 v[20:21], -v[36:37], v[42:43], 1.0
	v_fmac_f64_e32 v[42:43], v[42:43], v[20:21]
	v_div_scale_f64 v[20:21], vcc, v[26:27], v[30:31], v[26:27]
	v_mul_f64 v[40:41], v[20:21], v[42:43]
	v_fma_f64 v[20:21], -v[36:37], v[40:41], v[20:21]
	v_and_b32_e32 v1, 0x80000000, v1
	s_nop 0
	v_div_fmas_f64 v[20:21], v[20:21], v[42:43], v[40:41]
	v_div_fixup_f64 v[20:21], v[20:21], v[30:31], v[26:27]
	v_mul_f64 v[18:19], v[18:19], v[20:21]
	v_mul_f64 v[20:21], v[22:23], v[22:23]
	v_mul_f64 v[26:27], v[20:21], 0.5
	v_fmac_f64_e32 v[32:33], s[6:7], v[20:21]
	v_add_f64 v[30:31], -v[26:27], 1.0
	v_fma_f64 v[32:33], v[20:21], v[32:33], s[8:9]
	v_add_f64 v[36:37], -v[30:31], 1.0
	v_fma_f64 v[32:33], v[20:21], v[32:33], s[10:11]
	v_add_f64 v[26:27], v[36:37], -v[26:27]
	v_fma_f64 v[32:33], v[20:21], v[32:33], s[12:13]
	v_mul_f64 v[36:37], v[20:21], v[20:21]
	v_fma_f64 v[32:33], v[20:21], v[32:33], s[14:15]
	v_fma_f64 v[26:27], v[22:23], -v[24:25], v[26:27]
	v_fmac_f64_e32 v[26:27], v[36:37], v[32:33]
	v_fmac_f64_e32 v[38:39], s[16:17], v[20:21]
	v_add_f64 v[26:27], v[30:31], v[26:27]
	v_fma_f64 v[30:31], v[20:21], v[38:39], s[18:19]
	v_fma_f64 v[30:31], v[20:21], v[30:31], s[20:21]
	;; [unrolled: 1-line block ×3, first 2 shown]
	v_mul_f64 v[32:33], v[22:23], -v[20:21]
	v_mul_f64 v[36:37], v[24:25], 0.5
	v_fmac_f64_e32 v[36:37], v[32:33], v[30:31]
	v_xor_b32_e32 v1, v5, v1
	v_mov_b32_e32 v5, 0x7ff80000
	v_fma_f64 v[20:21], v[20:21], v[36:37], -v[24:25]
	v_cndmask_b32_e64 v35, v5, v1, s[0:1]
	v_fmac_f64_e32 v[20:21], s[24:25], v[32:33]
	v_and_b32_e32 v1, 1, v3
	v_lshlrev_b32_e32 v3, 30, v3
	v_add_f64 v[20:21], v[22:23], -v[20:21]
	v_cmp_eq_u32_e32 vcc, 0, v1
	v_xor_b32_e32 v3, v3, v17
	v_cndmask_b32_e64 v34, 0, v7, s[0:1]
	v_cndmask_b32_e32 v7, v27, v21, vcc
	v_and_b32_e32 v3, 0x80000000, v3
	v_cndmask_b32_e32 v1, v26, v20, vcc
	v_xor_b32_e32 v3, v7, v3
	v_cndmask_b32_e64 v16, 0, v1, s[0:1]
	v_cndmask_b32_e64 v17, v5, v3, s[0:1]
	s_mov_b32 s0, 0
	s_brev_b32 s1, 8
	v_cmp_gt_f64_e32 vcc, s[0:1], v[8:9]
	v_cndmask_b32_e64 v1, 0, 1, vcc
	v_lshlrev_b32_e32 v1, 8, v1
	v_ldexp_f64 v[8:9], v[8:9], v1
	v_mul_f64 v[16:17], v[18:19], v[16:17]
	v_rsq_f64_e32 v[18:19], v[8:9]
	v_mov_b32_e32 v1, 0xffffff80
	v_cndmask_b32_e32 v1, 0, v1, vcc
	s_mov_b32 s0, 0x33d43651
	v_mul_f64 v[20:21], v[8:9], v[18:19]
	v_mul_f64 v[18:19], v[18:19], 0.5
	v_fma_f64 v[22:23], -v[18:19], v[20:21], 0.5
	v_fmac_f64_e32 v[20:21], v[20:21], v[22:23]
	v_fma_f64 v[24:25], -v[20:21], v[20:21], v[8:9]
	v_fmac_f64_e32 v[18:19], v[18:19], v[22:23]
	v_fmac_f64_e32 v[20:21], v[24:25], v[18:19]
	v_fma_f64 v[22:23], -v[20:21], v[20:21], v[8:9]
	v_fmac_f64_e32 v[20:21], v[22:23], v[18:19]
	v_ldexp_f64 v[18:19], v[20:21], v1
	v_mov_b32_e32 v1, 0x260
	v_fmac_f64_e32 v[16:17], v[28:29], v[34:35]
	s_mov_b32 s1, 0x3fe98845
	v_cmp_class_f64_e32 vcc, v[8:9], v1
	v_mul_f64 v[16:17], v[16:17], s[0:1]
	v_cndmask_b32_e32 v9, v19, v9, vcc
	v_cndmask_b32_e32 v8, v18, v8, vcc
	v_div_scale_f64 v[18:19], s[0:1], v[8:9], v[8:9], v[16:17]
	v_rcp_f64_e32 v[20:21], v[18:19]
	v_fma_f64 v[22:23], -v[18:19], v[20:21], 1.0
	v_fmac_f64_e32 v[20:21], v[20:21], v[22:23]
	v_fma_f64 v[22:23], -v[18:19], v[20:21], 1.0
	v_fmac_f64_e32 v[20:21], v[20:21], v[22:23]
	v_div_scale_f64 v[22:23], vcc, v[16:17], v[8:9], v[16:17]
	v_mul_f64 v[24:25], v[22:23], v[20:21]
	v_fma_f64 v[18:19], -v[18:19], v[24:25], v[22:23]
	s_nop 1
	v_div_fmas_f64 v[18:19], v[18:19], v[20:21], v[24:25]
	v_div_fixup_f64 v[16:17], v[18:19], v[8:9], v[16:17]
.LBB7_138:
	s_or_b64 exec, exec, s[2:3]
	global_store_dwordx2 v0, v[10:11], s[4:5]
	global_store_dwordx2 v2, v[14:15], s[4:5]
	;; [unrolled: 1-line block ×4, first 2 shown]
	s_endpgm
.LBB7_139:
	s_mov_b32 s51, s50
	v_pk_mov_b32 v[0:1], s[50:51], s[50:51] op_sel:[0,1]
                                        ; implicit-def: $vgpr2
	v_mov_b32_e32 v3, v22
.LBB7_140:
	s_and_b32 s8, s59, 3
	s_cmp_eq_u32 s8, 0
	s_cbranch_scc1 .LBB7_144
; %bb.141:
	s_lshl_b32 s0, s50, 3
	s_add_u32 s0, s0, s4
	s_addc_u32 s1, s5, 0
	s_add_u32 s0, s0, 0xc4
	s_addc_u32 s1, s1, 0
	s_mul_i32 s2, s50, 12
	s_add_u32 s2, s4, s2
	s_addc_u32 s3, s5, 0
.LBB7_142:                              ; =>This Inner Loop Header: Depth=1
	s_load_dwordx2 s[10:11], s[2:3], 0x4
	s_load_dword s9, s[2:3], 0xc
	s_load_dwordx2 s[12:13], s[0:1], 0x0
	v_mov_b32_e32 v2, v1
	s_add_u32 s2, s2, 12
	s_waitcnt lgkmcnt(0)
	v_mul_hi_u32 v1, s11, v3
	v_add_u32_e32 v1, v3, v1
	v_lshrrev_b32_e32 v1, s9, v1
	s_addc_u32 s3, s3, 0
	v_mul_lo_u32 v4, v1, s10
	s_add_u32 s0, s0, 8
	v_sub_u32_e32 v6, v3, v4
	v_mov_b32_e32 v3, v1
	s_addc_u32 s1, s1, 0
	s_add_i32 s8, s8, -1
	v_mad_u64_u32 v[4:5], s[10:11], v6, s13, v[2:3]
	v_mad_u64_u32 v[0:1], s[10:11], v6, s12, v[0:1]
	s_cmp_lg_u32 s8, 0
	v_mov_b32_e32 v1, v4
	s_cbranch_scc1 .LBB7_142
; %bb.143:
	v_mov_b32_e32 v2, v1
.LBB7_144:
	s_cbranch_execnz .LBB7_147
.LBB7_145:
	s_waitcnt lgkmcnt(0)
	v_mul_hi_u32 v0, s37, v22
	v_add_u32_e32 v0, v22, v0
	v_lshrrev_b32_e32 v1, s38, v0
	v_mul_lo_u32 v0, v1, s36
	v_sub_u32_e32 v0, v22, v0
	v_mul_lo_u32 v2, v0, s29
	s_andn2_b64 vcc, exec, s[42:43]
	v_mul_lo_u32 v0, v0, s28
	s_cbranch_vccnz .LBB7_147
; %bb.146:
	v_mul_hi_u32 v3, s40, v1
	v_add_u32_e32 v3, v1, v3
	v_lshrrev_b32_e32 v3, s41, v3
	v_mul_lo_u32 v3, v3, s39
	v_sub_u32_e32 v3, v1, v3
	v_mad_u64_u32 v[0:1], s[0:1], v3, s30, v[0:1]
	v_mad_u64_u32 v[2:3], s[0:1], v3, s31, v[2:3]
.LBB7_147:
	s_waitcnt lgkmcnt(0)
	global_load_dwordx2 v[2:3], v2, s[26:27]
	s_mov_b32 s0, 0
	s_mov_b32 s1, 0x40140000
                                        ; implicit-def: $vgpr4_vgpr5
	s_waitcnt vmcnt(0)
	v_xor_b32_e32 v1, 0x80000000, v3
	v_cmp_gt_f64_e32 vcc, 0, v[2:3]
	v_cndmask_b32_e32 v3, v3, v1, vcc
	v_cndmask_b32_e32 v2, v2, v2, vcc
	v_cmp_ge_f64_e32 vcc, s[0:1], v[2:3]
	v_mul_f64 v[6:7], v[2:3], v[2:3]
	s_and_saveexec_b64 s[0:1], vcc
	s_xor_b64 s[0:1], exec, s[0:1]
	s_cbranch_execz .LBB7_153
; %bb.148:
	s_mov_b32 s2, 0x88e368f1
	s_mov_b32 s3, 0x3ee4f8b5
	v_cmp_ngt_f64_e32 vcc, s[2:3], v[2:3]
                                        ; implicit-def: $vgpr4_vgpr5
	s_and_saveexec_b64 s[2:3], vcc
	s_xor_b64 s[2:3], exec, s[2:3]
	s_cbranch_execz .LBB7_150
; %bb.149:
	v_mov_b32_e32 v2, 0xad1c8325
	v_mov_b32_e32 v3, 0xc1f1dc53
	v_fmac_f64_e32 v[2:3], 0, v[6:7]
	v_mov_b32_e32 v4, 0xc772990d
	v_mov_b32_e32 v5, 0x427c7751
	v_fmac_f64_e32 v[4:5], v[6:7], v[2:3]
	v_mov_b32_e32 v2, 0xe0d900f7
	v_mov_b32_e32 v3, 0xc2ec5614
	v_fmac_f64_e32 v[2:3], v[6:7], v[4:5]
	v_mov_b32_e32 v4, 0xa696b78c
	v_mov_b32_e32 v5, 0x407f3902
	v_fmac_f64_e32 v[4:5], 0, v[6:7]
	v_mov_b32_e32 v8, 0x36a21a67
	v_mov_b32_e32 v9, 0x410536cb
	v_fmac_f64_e32 v[8:9], v[6:7], v[4:5]
	v_mov_b32_e32 v4, 0x2eac0634
	v_mov_b32_e32 v5, 0x41871934
	v_fmac_f64_e32 v[4:5], v[6:7], v[8:9]
	v_mov_b32_e32 v8, 0x9444914
	v_mov_b32_e32 v9, 0x4204d5b0
	v_fmac_f64_e32 v[8:9], v[6:7], v[4:5]
	v_mov_b32_e32 v4, 0x72182e46
	v_mov_b32_e32 v5, 0x427ebeb3
	v_fmac_f64_e32 v[4:5], v[6:7], v[8:9]
	v_mov_b32_e32 v8, 0x8c9748e9
	v_mov_b32_e32 v9, 0x42f1a6a2
	v_fmac_f64_e32 v[8:9], v[6:7], v[4:5]
	v_mov_b32_e32 v4, 0x7e7b2e9c
	v_mov_b32_e32 v5, 0x435c4141
	v_fmac_f64_e32 v[4:5], v[6:7], v[8:9]
	v_mov_b32_e32 v8, 0xc7b662cc
	v_mov_b32_e32 v9, 0x43b7be34
	s_mov_b32 s8, 0x80462bbb
	v_fmac_f64_e32 v[8:9], v[6:7], v[4:5]
	v_mov_b32_e32 v4, 0x69ff5fb4
	v_mov_b32_e32 v5, 0x43413ef8
	s_mov_b32 s9, 0xc01721fb
	v_fmac_f64_e32 v[4:5], v[6:7], v[2:3]
	v_add_f64 v[2:3], v[6:7], s[8:9]
	s_mov_b32 s8, 0xa621dd6f
	s_mov_b32 s9, 0xc03e78a4
	v_add_f64 v[6:7], v[6:7], s[8:9]
	v_mul_f64 v[2:3], v[2:3], v[6:7]
	v_mul_f64 v[2:3], v[2:3], v[4:5]
	v_div_scale_f64 v[4:5], s[8:9], v[8:9], v[8:9], v[2:3]
	v_rcp_f64_e32 v[6:7], v[4:5]
	v_fma_f64 v[10:11], -v[4:5], v[6:7], 1.0
	v_fmac_f64_e32 v[6:7], v[6:7], v[10:11]
	v_fma_f64 v[10:11], -v[4:5], v[6:7], 1.0
	v_fmac_f64_e32 v[6:7], v[6:7], v[10:11]
	v_div_scale_f64 v[10:11], vcc, v[2:3], v[8:9], v[2:3]
	v_mul_f64 v[12:13], v[10:11], v[6:7]
	v_fma_f64 v[4:5], -v[4:5], v[12:13], v[10:11]
	s_nop 1
	v_div_fmas_f64 v[4:5], v[4:5], v[6:7], v[12:13]
	v_div_fixup_f64 v[4:5], v[4:5], v[8:9], v[2:3]
                                        ; implicit-def: $vgpr6_vgpr7
.LBB7_150:
	s_andn2_saveexec_b64 s[2:3], s[2:3]
; %bb.151:
	s_mov_b32 s8, 0
	s_mov_b32 s9, 0xbfd00000
	v_fma_f64 v[4:5], v[6:7], s[8:9], 1.0
; %bb.152:
	s_or_b64 exec, exec, s[2:3]
                                        ; implicit-def: $vgpr6_vgpr7
                                        ; implicit-def: $vgpr2_vgpr3
.LBB7_153:
	s_andn2_saveexec_b64 s[2:3], s[0:1]
	s_cbranch_execz .LBB7_163
; %bb.154:
	s_mov_b32 s11, 0xbfe921fb
	s_mov_b32 s10, 0x54442d18
	;; [unrolled: 1-line block ×3, first 2 shown]
	v_add_f64 v[4:5], v[2:3], s[10:11]
	s_mov_b32 s1, 0x41d00000
	v_cmp_nlt_f64_e64 s[8:9], |v[4:5]|, s[0:1]
                                        ; implicit-def: $vgpr1
                                        ; implicit-def: $vgpr8_vgpr9
                                        ; implicit-def: $vgpr10_vgpr11
	s_and_saveexec_b64 s[0:1], s[8:9]
	s_xor_b64 s[12:13], exec, s[0:1]
	s_cbranch_execz .LBB7_156
; %bb.155:
	s_mov_b32 s0, 0
	s_mov_b32 s1, 0x7b000000
	s_movk_i32 s11, 0xff80
	v_and_b32_e32 v1, 0x7fffffff, v5
	v_ldexp_f64 v[12:13], |v[4:5]|, s11
	v_cmp_ge_f64_e64 vcc, |v[4:5]|, s[0:1]
	v_trig_preop_f64 v[8:9], |v[4:5]|, 0
	v_cndmask_b32_e32 v13, v1, v13, vcc
	v_cndmask_b32_e32 v12, v4, v12, vcc
	v_trig_preop_f64 v[10:11], |v[4:5]|, 1
	v_mul_f64 v[16:17], v[8:9], v[12:13]
	v_mul_f64 v[14:15], v[10:11], v[12:13]
	v_fma_f64 v[8:9], v[8:9], v[12:13], -v[16:17]
	v_add_f64 v[18:19], v[14:15], v[8:9]
	v_add_f64 v[20:21], v[16:17], v[18:19]
	s_mov_b32 s0, 0
	v_ldexp_f64 v[24:25], v[20:21], -2
	s_mov_b32 s1, 0x7ff00000
	v_fract_f64_e32 v[26:27], v[24:25]
	v_cmp_neq_f64_e64 vcc, |v[24:25]|, s[0:1]
	v_cndmask_b32_e32 v25, 0, v27, vcc
	v_cndmask_b32_e32 v24, 0, v26, vcc
	v_add_f64 v[26:27], v[18:19], -v[14:15]
	v_add_f64 v[8:9], v[8:9], -v[26:27]
	;; [unrolled: 1-line block ×4, first 2 shown]
	v_fma_f64 v[10:11], v[10:11], v[12:13], -v[14:15]
	v_trig_preop_f64 v[14:15], |v[4:5]|, 2
	v_add_f64 v[8:9], v[8:9], v[26:27]
	v_mul_f64 v[26:27], v[14:15], v[12:13]
	v_add_f64 v[30:31], v[26:27], v[10:11]
	v_add_f64 v[32:33], v[30:31], v[8:9]
	v_add_f64 v[16:17], v[20:21], -v[16:17]
	v_add_f64 v[20:21], v[32:33], -v[30:31]
	;; [unrolled: 1-line block ×5, first 2 shown]
	v_add_f64 v[8:9], v[8:9], v[20:21]
	v_add_f64 v[20:21], v[30:31], -v[26:27]
	v_add_f64 v[10:11], v[10:11], -v[20:21]
	;; [unrolled: 1-line block ×4, first 2 shown]
	v_add_f64 v[10:11], v[10:11], v[20:21]
	v_add_f64 v[16:17], v[18:19], -v[16:17]
	v_add_f64 v[8:9], v[10:11], v[8:9]
	v_fma_f64 v[10:11], v[14:15], v[12:13], -v[26:27]
	v_add_f64 v[18:19], v[16:17], v[32:33]
	v_add_f64 v[8:9], v[10:11], v[8:9]
	v_ldexp_f64 v[10:11], v[24:25], 2
	v_add_f64 v[12:13], v[18:19], v[10:11]
	v_mov_b32_e32 v1, 0x40100000
	v_cmp_gt_f64_e32 vcc, 0, v[12:13]
	v_mov_b32_e32 v28, 0
	v_cndmask_b32_e32 v29, 0, v1, vcc
	v_add_f64 v[10:11], v[10:11], v[28:29]
	v_add_f64 v[12:13], v[18:19], v[10:11]
	v_cvt_i32_f64_e32 v1, v[12:13]
	v_cvt_f64_i32_e32 v[12:13], v1
	v_add_f64 v[10:11], v[10:11], -v[12:13]
	v_add_f64 v[16:17], v[18:19], -v[16:17]
	v_add_f64 v[12:13], v[18:19], v[10:11]
	v_add_f64 v[16:17], v[32:33], -v[16:17]
	v_add_f64 v[10:11], v[12:13], -v[10:11]
	v_add_f64 v[8:9], v[16:17], v[8:9]
	v_add_f64 v[10:11], v[18:19], -v[10:11]
	v_add_f64 v[8:9], v[8:9], v[10:11]
	v_cmp_le_f64_e32 vcc, 0.5, v[12:13]
	v_mov_b32_e32 v10, 0x3ff00000
	v_cndmask_b32_e32 v29, 0, v10, vcc
	v_add_f64 v[10:11], v[12:13], -v[28:29]
	v_add_f64 v[12:13], v[10:11], v[8:9]
	v_addc_co_u32_e64 v1, s[0:1], 0, v1, vcc
	v_add_f64 v[10:11], v[12:13], -v[10:11]
	s_mov_b32 s11, 0x3ff921fb
	v_add_f64 v[8:9], v[8:9], -v[10:11]
	v_mul_f64 v[10:11], v[12:13], s[10:11]
	s_mov_b32 s0, 0x33145c07
	v_fma_f64 v[14:15], v[12:13], s[10:11], -v[10:11]
	s_mov_b32 s1, 0x3c91a626
	v_fmac_f64_e32 v[14:15], s[0:1], v[12:13]
	v_fmac_f64_e32 v[14:15], s[10:11], v[8:9]
	v_add_f64 v[8:9], v[10:11], v[14:15]
	v_add_f64 v[10:11], v[8:9], -v[10:11]
	v_add_f64 v[10:11], v[14:15], -v[10:11]
	s_andn2_saveexec_b64 s[0:1], s[12:13]
	s_cbranch_execz .LBB7_158
	s_branch .LBB7_157
.LBB7_156:
	s_andn2_saveexec_b64 s[0:1], s[12:13]
	s_cbranch_execz .LBB7_158
.LBB7_157:
	s_mov_b32 s10, 0x6dc9c883
	s_mov_b32 s11, 0x3fe45f30
	v_mul_f64 v[8:9], |v[4:5]|, s[10:11]
	s_mov_b32 s10, 0x54442d18
	v_rndne_f64_e32 v[12:13], v[8:9]
	s_mov_b32 s11, 0xbff921fb
	v_fma_f64 v[8:9], v[12:13], s[10:11], |v[4:5]|
	s_mov_b32 s11, 0xbc91a626
	s_mov_b32 s10, 0x33145c00
	v_mul_f64 v[14:15], v[12:13], s[10:11]
	v_add_f64 v[18:19], v[8:9], v[14:15]
	v_fma_f64 v[10:11], s[10:11], v[12:13], v[8:9]
	s_mov_b32 s11, 0x3c91a626
	v_add_f64 v[8:9], v[8:9], -v[18:19]
	v_fma_f64 v[16:17], s[10:11], v[12:13], v[14:15]
	v_add_f64 v[8:9], v[8:9], v[14:15]
	v_add_f64 v[14:15], v[18:19], -v[10:11]
	v_add_f64 v[8:9], v[14:15], v[8:9]
	s_mov_b32 s10, 0x252049c0
	v_add_f64 v[14:15], v[8:9], -v[16:17]
	s_mov_b32 s11, 0xb97b839a
	v_fmac_f64_e32 v[14:15], s[10:11], v[12:13]
	v_add_f64 v[8:9], v[10:11], v[14:15]
	v_add_f64 v[10:11], v[8:9], -v[10:11]
	v_add_f64 v[10:11], v[14:15], -v[10:11]
	v_cvt_i32_f64_e32 v1, v[12:13]
.LBB7_158:
	s_or_b64 exec, exec, s[0:1]
                                        ; implicit-def: $vgpr23
                                        ; implicit-def: $vgpr12_vgpr13
                                        ; implicit-def: $vgpr14_vgpr15
	s_and_saveexec_b64 s[0:1], s[8:9]
	s_xor_b64 s[8:9], exec, s[0:1]
	s_cbranch_execz .LBB7_160
; %bb.159:
	s_mov_b32 s0, 0
	s_mov_b32 s1, 0x7b000000
	s_movk_i32 s10, 0xff80
	v_and_b32_e32 v18, 0x7fffffff, v5
	v_ldexp_f64 v[16:17], |v[4:5]|, s10
	v_cmp_ge_f64_e64 vcc, |v[4:5]|, s[0:1]
	v_trig_preop_f64 v[12:13], |v[4:5]|, 0
	v_cndmask_b32_e32 v17, v18, v17, vcc
	v_cndmask_b32_e32 v16, v4, v16, vcc
	v_trig_preop_f64 v[14:15], |v[4:5]|, 1
	v_mul_f64 v[20:21], v[12:13], v[16:17]
	v_mul_f64 v[18:19], v[14:15], v[16:17]
	v_fma_f64 v[12:13], v[12:13], v[16:17], -v[20:21]
	v_add_f64 v[24:25], v[18:19], v[12:13]
	v_add_f64 v[26:27], v[20:21], v[24:25]
	s_mov_b32 s0, 0
	v_ldexp_f64 v[28:29], v[26:27], -2
	s_mov_b32 s1, 0x7ff00000
	v_fract_f64_e32 v[30:31], v[28:29]
	v_cmp_neq_f64_e64 vcc, |v[28:29]|, s[0:1]
	v_cndmask_b32_e32 v29, 0, v31, vcc
	v_cndmask_b32_e32 v28, 0, v30, vcc
	v_add_f64 v[30:31], v[24:25], -v[18:19]
	v_add_f64 v[12:13], v[12:13], -v[30:31]
	v_add_f64 v[30:31], v[24:25], -v[30:31]
	v_add_f64 v[30:31], v[18:19], -v[30:31]
	v_fma_f64 v[14:15], v[14:15], v[16:17], -v[18:19]
	v_trig_preop_f64 v[18:19], |v[4:5]|, 2
	v_add_f64 v[12:13], v[12:13], v[30:31]
	v_mul_f64 v[30:31], v[18:19], v[16:17]
	v_add_f64 v[34:35], v[30:31], v[14:15]
	v_add_f64 v[36:37], v[34:35], v[12:13]
	v_add_f64 v[20:21], v[26:27], -v[20:21]
	v_add_f64 v[26:27], v[36:37], -v[34:35]
	;; [unrolled: 1-line block ×5, first 2 shown]
	v_add_f64 v[12:13], v[12:13], v[26:27]
	v_add_f64 v[26:27], v[34:35], -v[30:31]
	v_add_f64 v[14:15], v[14:15], -v[26:27]
	;; [unrolled: 1-line block ×4, first 2 shown]
	v_add_f64 v[14:15], v[14:15], v[26:27]
	v_add_f64 v[20:21], v[24:25], -v[20:21]
	v_add_f64 v[12:13], v[14:15], v[12:13]
	v_fma_f64 v[14:15], v[18:19], v[16:17], -v[30:31]
	v_add_f64 v[24:25], v[20:21], v[36:37]
	v_add_f64 v[12:13], v[14:15], v[12:13]
	v_ldexp_f64 v[14:15], v[28:29], 2
	v_add_f64 v[16:17], v[24:25], v[14:15]
	v_mov_b32_e32 v18, 0x40100000
	v_cmp_gt_f64_e32 vcc, 0, v[16:17]
	v_mov_b32_e32 v32, 0
	v_cndmask_b32_e32 v33, 0, v18, vcc
	v_add_f64 v[14:15], v[14:15], v[32:33]
	v_add_f64 v[16:17], v[24:25], v[14:15]
	v_cvt_i32_f64_e32 v18, v[16:17]
	v_cvt_f64_i32_e32 v[16:17], v18
	v_add_f64 v[14:15], v[14:15], -v[16:17]
	v_add_f64 v[20:21], v[24:25], -v[20:21]
	v_add_f64 v[16:17], v[24:25], v[14:15]
	v_add_f64 v[20:21], v[36:37], -v[20:21]
	v_add_f64 v[14:15], v[16:17], -v[14:15]
	v_add_f64 v[12:13], v[20:21], v[12:13]
	v_add_f64 v[14:15], v[24:25], -v[14:15]
	v_add_f64 v[12:13], v[12:13], v[14:15]
	v_cmp_le_f64_e32 vcc, 0.5, v[16:17]
	v_mov_b32_e32 v14, 0x3ff00000
	v_cndmask_b32_e32 v33, 0, v14, vcc
	v_addc_co_u32_e64 v23, s[0:1], 0, v18, vcc
	v_add_f64 v[14:15], v[16:17], -v[32:33]
	v_add_f64 v[16:17], v[14:15], v[12:13]
	s_mov_b32 s0, 0x54442d18
	v_add_f64 v[14:15], v[16:17], -v[14:15]
	s_mov_b32 s1, 0x3ff921fb
	v_add_f64 v[12:13], v[12:13], -v[14:15]
	v_mul_f64 v[14:15], v[16:17], s[0:1]
	s_mov_b32 s10, 0x33145c07
	v_fma_f64 v[18:19], v[16:17], s[0:1], -v[14:15]
	s_mov_b32 s11, 0x3c91a626
	v_fmac_f64_e32 v[18:19], s[10:11], v[16:17]
	v_fmac_f64_e32 v[18:19], s[0:1], v[12:13]
	v_add_f64 v[12:13], v[14:15], v[18:19]
	v_add_f64 v[14:15], v[12:13], -v[14:15]
	v_add_f64 v[14:15], v[18:19], -v[14:15]
	s_andn2_saveexec_b64 s[0:1], s[8:9]
	s_cbranch_execnz .LBB7_161
	s_branch .LBB7_162
.LBB7_160:
	s_andn2_saveexec_b64 s[0:1], s[8:9]
	s_cbranch_execz .LBB7_162
.LBB7_161:
	s_mov_b32 s8, 0x6dc9c883
	s_mov_b32 s9, 0x3fe45f30
	v_mul_f64 v[12:13], |v[4:5]|, s[8:9]
	s_mov_b32 s8, 0x54442d18
	v_rndne_f64_e32 v[16:17], v[12:13]
	s_mov_b32 s9, 0xbff921fb
	v_fma_f64 v[12:13], v[16:17], s[8:9], |v[4:5]|
	s_mov_b32 s9, 0xbc91a626
	s_mov_b32 s8, 0x33145c00
	v_mul_f64 v[18:19], v[16:17], s[8:9]
	v_add_f64 v[24:25], v[12:13], v[18:19]
	v_fma_f64 v[14:15], s[8:9], v[16:17], v[12:13]
	s_mov_b32 s9, 0x3c91a626
	v_add_f64 v[12:13], v[12:13], -v[24:25]
	v_fma_f64 v[20:21], s[8:9], v[16:17], v[18:19]
	v_add_f64 v[12:13], v[12:13], v[18:19]
	v_add_f64 v[18:19], v[24:25], -v[14:15]
	v_add_f64 v[12:13], v[18:19], v[12:13]
	s_mov_b32 s8, 0x252049c0
	v_add_f64 v[18:19], v[12:13], -v[20:21]
	s_mov_b32 s9, 0xb97b839a
	v_fmac_f64_e32 v[18:19], s[8:9], v[16:17]
	v_add_f64 v[12:13], v[14:15], v[18:19]
	v_add_f64 v[14:15], v[12:13], -v[14:15]
	v_add_f64 v[14:15], v[18:19], -v[14:15]
	v_cvt_i32_f64_e32 v23, v[16:17]
.LBB7_162:
	s_or_b64 exec, exec, s[0:1]
	s_mov_b32 s0, 0
	s_mov_b32 s1, 0x40390000
	v_div_scale_f64 v[16:17], s[8:9], v[6:7], v[6:7], s[0:1]
	v_rcp_f64_e32 v[18:19], v[16:17]
	v_mov_b32_e32 v26, 0x55b218cd
	v_mov_b32_e32 v27, 0xc049b48c
	s_mov_b32 s8, 0x46cc5e42
	v_fma_f64 v[20:21], -v[16:17], v[18:19], 1.0
	v_fmac_f64_e32 v[18:19], v[18:19], v[20:21]
	v_fma_f64 v[20:21], -v[16:17], v[18:19], 1.0
	v_fmac_f64_e32 v[18:19], v[18:19], v[20:21]
	v_div_scale_f64 v[20:21], vcc, s[0:1], v[6:7], s[0:1]
	v_mul_f64 v[24:25], v[20:21], v[18:19]
	v_fma_f64 v[16:17], -v[16:17], v[24:25], v[20:21]
	v_mov_b32_e32 v20, 0xab5454e3
	s_nop 0
	v_div_fmas_f64 v[16:17], v[16:17], v[18:19], v[24:25]
	v_div_fixup_f64 v[16:17], v[16:17], v[6:7], s[0:1]
	v_mov_b32_e32 v6, 0x983b6b27
	v_mov_b32_e32 v7, 0x3f4a1d30
	v_fmac_f64_e32 v[6:7], 0, v[16:17]
	v_mov_b32_e32 v18, 0xb35dd1cf
	v_mov_b32_e32 v19, 0x3fb534b0
	v_fmac_f64_e32 v[18:19], v[16:17], v[6:7]
	;; [unrolled: 3-line block ×7, first 2 shown]
	v_mov_b32_e32 v21, 0x3fb5ebc5
	v_fmac_f64_e32 v[20:21], v[16:17], v[6:7]
	v_mov_b32_e32 v6, 0xc9b3069f
	v_mov_b32_e32 v7, 0x3ff40e72
	v_fmac_f64_e32 v[6:7], v[16:17], v[20:21]
	v_mov_b32_e32 v20, 0xe68162bb
	;; [unrolled: 3-line block ×10, first 2 shown]
	v_mov_b32_e32 v25, 0xc062627a
	v_fmac_f64_e32 v[24:25], v[16:17], v[6:7]
	v_fmac_f64_e32 v[26:27], v[16:17], v[24:25]
	v_mov_b32_e32 v6, 0xd1b9a1dd
	v_mov_b32_e32 v7, 0xc0183358
	;; [unrolled: 1-line block ×4, first 2 shown]
	v_fmac_f64_e32 v[6:7], v[16:17], v[26:27]
	v_fmac_f64_e32 v[24:25], 0, v[16:17]
	v_mov_b32_e32 v26, 0xb1759c7f
	v_mov_b32_e32 v27, 0x408ac370
	v_fmac_f64_e32 v[26:27], v[16:17], v[24:25]
	v_mov_b32_e32 v24, 0xbd748cb5
	v_mov_b32_e32 v25, 0x40ae54cd
	v_fmac_f64_e32 v[24:25], v[16:17], v[26:27]
	v_mov_b32_e32 v26, 0xbdefd63e
	v_mov_b32_e32 v27, 0x40bc4877
	v_fmac_f64_e32 v[26:27], v[16:17], v[24:25]
	v_mov_b32_e32 v24, 0x1d733b11
	v_mov_b32_e32 v25, 0x40b72aba
	v_fmac_f64_e32 v[24:25], v[16:17], v[26:27]
	v_mov_b32_e32 v26, 0xc7319e82
	v_mov_b32_e32 v27, 0x40a01c2f
	v_fma_f64 v[20:21], v[16:17], v[20:21], 1.0
	v_fmac_f64_e32 v[26:27], v[16:17], v[24:25]
	v_fma_f64 v[24:25], v[16:17], v[18:19], 1.0
	v_div_scale_f64 v[28:29], s[0:1], v[20:21], v[20:21], v[24:25]
	v_rcp_f64_e32 v[30:31], v[28:29]
	v_mov_b32_e32 v18, 0x6280a54
	v_mov_b32_e32 v19, 0x406e402f
	v_fmac_f64_e32 v[18:19], v[16:17], v[26:27]
	v_fma_f64 v[16:17], -v[28:29], v[30:31], 1.0
	v_fmac_f64_e32 v[30:31], v[30:31], v[16:17]
	v_fma_f64 v[16:17], -v[28:29], v[30:31], 1.0
	v_fmac_f64_e32 v[30:31], v[30:31], v[16:17]
	v_div_scale_f64 v[16:17], vcc, v[24:25], v[20:21], v[24:25]
	v_mul_f64 v[26:27], v[16:17], v[30:31]
	v_fma_f64 v[16:17], -v[28:29], v[26:27], v[16:17]
	s_mov_b32 s0, 0x9037ab78
	s_nop 0
	v_div_fmas_f64 v[16:17], v[16:17], v[30:31], v[26:27]
	v_div_fixup_f64 v[16:17], v[16:17], v[20:21], v[24:25]
	v_mul_f64 v[24:25], v[8:9], v[8:9]
	v_mul_f64 v[20:21], v[24:25], 0.5
	v_add_f64 v[26:27], -v[20:21], 1.0
	v_add_f64 v[28:29], -v[26:27], 1.0
	s_mov_b32 s1, 0x3e21eeb6
	v_add_f64 v[28:29], v[28:29], -v[20:21]
	s_mov_b32 s9, 0xbda907db
	v_pk_mov_b32 v[20:21], s[0:1], s[0:1] op_sel:[0,1]
	s_mov_b32 s10, 0xa17f65f6
	v_fma_f64 v[32:33], s[8:9], v[24:25], v[20:21]
	s_mov_b32 s11, 0xbe927e4f
	s_mov_b32 s12, 0x19f4ec90
	v_fma_f64 v[32:33], v[24:25], v[32:33], s[10:11]
	s_mov_b32 s13, 0x3efa01a0
	;; [unrolled: 3-line block ×4, first 2 shown]
	v_mul_f64 v[30:31], v[24:25], v[24:25]
	v_fma_f64 v[32:33], v[24:25], v[32:33], s[16:17]
	v_fma_f64 v[28:29], v[8:9], -v[10:11], v[28:29]
	s_mov_b32 s0, 0xb42fdfa7
	v_fmac_f64_e32 v[28:29], v[30:31], v[32:33]
	s_mov_b32 s1, 0xbe5ae600
	s_mov_b32 s18, 0xf9a43bb8
	v_add_f64 v[26:27], v[26:27], v[28:29]
	s_mov_b32 s19, 0x3de5e0b2
	v_pk_mov_b32 v[28:29], s[0:1], s[0:1] op_sel:[0,1]
	s_mov_b32 s20, 0x796cde01
	v_fma_f64 v[30:31], s[18:19], v[24:25], v[28:29]
	s_mov_b32 s21, 0x3ec71de3
	s_mov_b32 s22, 0x19e83e5c
	v_fma_f64 v[30:31], v[24:25], v[30:31], s[20:21]
	s_mov_b32 s23, 0xbf2a01a0
	;; [unrolled: 3-line block ×3, first 2 shown]
	v_fma_f64 v[30:31], v[24:25], v[30:31], s[50:51]
	v_mul_f64 v[32:33], v[8:9], -v[24:25]
	v_mul_f64 v[34:35], v[10:11], 0.5
	v_fmac_f64_e32 v[34:35], v[32:33], v[30:31]
	v_fma_f64 v[10:11], v[24:25], v[34:35], -v[10:11]
	s_mov_b32 s53, 0xbfc55555
	s_mov_b32 s52, s16
	v_fmac_f64_e32 v[10:11], s[52:53], v[32:33]
	v_add_f64 v[8:9], v[8:9], -v[10:11]
	v_and_b32_e32 v10, 1, v1
	v_xor_b32_e32 v9, 0x80000000, v9
	v_cmp_eq_u32_e32 vcc, 0, v10
	v_lshlrev_b32_e32 v1, 30, v1
	s_mov_b32 s54, 0
	v_cndmask_b32_e32 v24, v8, v26, vcc
	v_cndmask_b32_e32 v8, v9, v27, vcc
	v_and_b32_e32 v1, 0x80000000, v1
	s_mov_b32 s55, 0xc0140000
	v_xor_b32_e32 v1, v8, v1
	v_div_scale_f64 v[8:9], s[0:1], v[2:3], v[2:3], s[54:55]
	v_rcp_f64_e32 v[10:11], v[8:9]
	s_movk_i32 s59, 0x1f8
	v_cmp_class_f64_e64 s[0:1], v[4:5], s59
	v_mov_b32_e32 v34, 0x7ff80000
	v_fma_f64 v[26:27], -v[8:9], v[10:11], 1.0
	v_fmac_f64_e32 v[10:11], v[10:11], v[26:27]
	v_fma_f64 v[26:27], -v[8:9], v[10:11], 1.0
	v_fmac_f64_e32 v[10:11], v[10:11], v[26:27]
	v_div_scale_f64 v[26:27], vcc, s[54:55], v[2:3], s[54:55]
	v_mul_f64 v[30:31], v[26:27], v[10:11]
	v_fma_f64 v[8:9], -v[8:9], v[30:31], v[26:27]
	v_div_scale_f64 v[26:27], s[60:61], v[18:19], v[18:19], v[6:7]
	v_rcp_f64_e32 v[32:33], v[26:27]
	v_div_fmas_f64 v[8:9], v[8:9], v[10:11], v[30:31]
	v_div_fixup_f64 v[8:9], v[8:9], v[2:3], s[54:55]
	v_cndmask_b32_e64 v25, v34, v1, s[0:1]
	v_fma_f64 v[10:11], -v[26:27], v[32:33], 1.0
	v_fmac_f64_e32 v[32:33], v[32:33], v[10:11]
	v_fma_f64 v[10:11], -v[26:27], v[32:33], 1.0
	v_fmac_f64_e32 v[32:33], v[32:33], v[10:11]
	v_div_scale_f64 v[10:11], vcc, v[6:7], v[18:19], v[6:7]
	v_mul_f64 v[30:31], v[10:11], v[32:33]
	v_fma_f64 v[10:11], -v[26:27], v[30:31], v[10:11]
	v_and_b32_e32 v1, 1, v23
	s_nop 0
	v_div_fmas_f64 v[10:11], v[10:11], v[32:33], v[30:31]
	v_div_fixup_f64 v[6:7], v[10:11], v[18:19], v[6:7]
	v_mul_f64 v[6:7], v[8:9], v[6:7]
	v_mul_f64 v[8:9], v[12:13], v[12:13]
	v_mul_f64 v[10:11], v[8:9], 0.5
	v_fmac_f64_e32 v[20:21], s[8:9], v[8:9]
	v_add_f64 v[18:19], -v[10:11], 1.0
	v_fma_f64 v[20:21], v[8:9], v[20:21], s[10:11]
	v_add_f64 v[26:27], -v[18:19], 1.0
	v_fma_f64 v[20:21], v[8:9], v[20:21], s[12:13]
	v_add_f64 v[10:11], v[26:27], -v[10:11]
	v_fma_f64 v[20:21], v[8:9], v[20:21], s[14:15]
	v_mul_f64 v[26:27], v[8:9], v[8:9]
	v_fma_f64 v[20:21], v[8:9], v[20:21], s[16:17]
	v_fma_f64 v[10:11], v[12:13], -v[14:15], v[10:11]
	v_fmac_f64_e32 v[10:11], v[26:27], v[20:21]
	v_fmac_f64_e32 v[28:29], s[18:19], v[8:9]
	v_add_f64 v[10:11], v[18:19], v[10:11]
	v_fma_f64 v[18:19], v[8:9], v[28:29], s[20:21]
	v_fma_f64 v[18:19], v[8:9], v[18:19], s[22:23]
	v_fma_f64 v[18:19], v[8:9], v[18:19], s[50:51]
	v_mul_f64 v[20:21], v[12:13], -v[8:9]
	v_mul_f64 v[26:27], v[14:15], 0.5
	v_fmac_f64_e32 v[26:27], v[20:21], v[18:19]
	v_fma_f64 v[8:9], v[8:9], v[26:27], -v[14:15]
	v_fmac_f64_e32 v[8:9], s[52:53], v[20:21]
	v_add_f64 v[8:9], v[12:13], -v[8:9]
	v_cmp_eq_u32_e32 vcc, 0, v1
	v_cndmask_b32_e32 v1, v10, v8, vcc
	v_lshlrev_b32_e32 v8, 30, v23
	v_xor_b32_e32 v5, v8, v5
	v_cndmask_b32_e32 v4, v11, v9, vcc
	v_and_b32_e32 v5, 0x80000000, v5
	v_xor_b32_e32 v5, v4, v5
	v_cndmask_b32_e64 v24, 0, v24, s[0:1]
	v_cndmask_b32_e64 v4, 0, v1, s[0:1]
	v_cndmask_b32_e64 v5, v34, v5, s[0:1]
	s_mov_b32 s0, 0
	s_brev_b32 s1, 8
	v_cmp_gt_f64_e32 vcc, s[0:1], v[2:3]
	v_cndmask_b32_e64 v1, 0, 1, vcc
	v_lshlrev_b32_e32 v1, 8, v1
	v_ldexp_f64 v[2:3], v[2:3], v1
	v_mul_f64 v[4:5], v[6:7], v[4:5]
	v_rsq_f64_e32 v[6:7], v[2:3]
	v_mov_b32_e32 v1, 0xffffff80
	v_cndmask_b32_e32 v1, 0, v1, vcc
	s_mov_b32 s0, 0x33d43651
	v_mul_f64 v[8:9], v[2:3], v[6:7]
	v_mul_f64 v[6:7], v[6:7], 0.5
	v_fma_f64 v[10:11], -v[6:7], v[8:9], 0.5
	v_fmac_f64_e32 v[8:9], v[8:9], v[10:11]
	v_fma_f64 v[12:13], -v[8:9], v[8:9], v[2:3]
	v_fmac_f64_e32 v[6:7], v[6:7], v[10:11]
	v_fmac_f64_e32 v[8:9], v[12:13], v[6:7]
	v_fma_f64 v[10:11], -v[8:9], v[8:9], v[2:3]
	v_fmac_f64_e32 v[8:9], v[10:11], v[6:7]
	v_ldexp_f64 v[6:7], v[8:9], v1
	v_mov_b32_e32 v1, 0x260
	v_fmac_f64_e32 v[4:5], v[16:17], v[24:25]
	s_mov_b32 s1, 0x3fe98845
	v_cmp_class_f64_e32 vcc, v[2:3], v1
	v_mul_f64 v[4:5], v[4:5], s[0:1]
	v_cndmask_b32_e32 v3, v7, v3, vcc
	v_cndmask_b32_e32 v2, v6, v2, vcc
	v_div_scale_f64 v[6:7], s[0:1], v[2:3], v[2:3], v[4:5]
	v_rcp_f64_e32 v[8:9], v[6:7]
	v_fma_f64 v[10:11], -v[6:7], v[8:9], 1.0
	v_fmac_f64_e32 v[8:9], v[8:9], v[10:11]
	v_fma_f64 v[10:11], -v[6:7], v[8:9], 1.0
	v_fmac_f64_e32 v[8:9], v[8:9], v[10:11]
	v_div_scale_f64 v[10:11], vcc, v[4:5], v[2:3], v[4:5]
	v_mul_f64 v[12:13], v[10:11], v[8:9]
	v_fma_f64 v[6:7], -v[6:7], v[12:13], v[10:11]
	s_nop 1
	v_div_fmas_f64 v[6:7], v[6:7], v[8:9], v[12:13]
	v_div_fixup_f64 v[4:5], v[6:7], v[2:3], v[4:5]
.LBB7_163:
	s_or_b64 exec, exec, s[2:3]
	v_add_u32_e32 v22, 0x80, v22
	global_store_dwordx2 v0, v[4:5], s[24:25]
	s_or_b64 exec, exec, s[48:49]
	v_cmp_gt_i32_e32 vcc, s57, v22
	s_and_saveexec_b64 s[48:49], vcc
	s_cbranch_execnz .LBB7_17
.LBB7_164:
	s_or_b64 exec, exec, s[48:49]
	v_cmp_gt_i32_e32 vcc, s57, v22
	s_and_saveexec_b64 s[48:49], vcc
	s_cbranch_execz .LBB7_197
.LBB7_165:
	s_andn2_b64 vcc, exec, s[6:7]
	s_cbranch_vccnz .LBB7_171
; %bb.166:
	s_mov_b32 s50, 0
	s_andn2_b64 vcc, exec, s[46:47]
	v_mov_b32_e32 v2, 0
	v_mov_b32_e32 v0, 0
	s_cbranch_vccnz .LBB7_205
; %bb.167:
	s_add_i32 s59, s58, 1
	s_cmp_eq_u32 s56, 2
	s_cbranch_scc1 .LBB7_200
; %bb.168:
	s_and_b32 s50, s59, 28
	s_mov_b32 s51, 0
	v_mov_b32_e32 v0, 0
	s_mov_b64 s[52:53], s[4:5]
	s_mov_b64 s[54:55], s[44:45]
	v_mov_b32_e32 v3, v22
	v_mov_b32_e32 v2, 0
.LBB7_169:                              ; =>This Inner Loop Header: Depth=1
	s_load_dwordx8 s[16:23], s[52:53], 0x4
	s_load_dwordx4 s[0:3], s[52:53], 0x24
	s_load_dwordx8 s[8:15], s[54:55], 0x0
	s_add_u32 s52, s52, 48
	s_addc_u32 s53, s53, 0
	s_waitcnt lgkmcnt(0)
	v_mul_hi_u32 v1, s17, v3
	v_add_u32_e32 v1, v3, v1
	v_lshrrev_b32_e32 v1, s18, v1
	v_mul_lo_u32 v4, v1, s16
	v_mul_hi_u32 v5, s20, v1
	v_sub_u32_e32 v3, v3, v4
	v_add_u32_e32 v4, v1, v5
	v_lshrrev_b32_e32 v4, s21, v4
	v_mul_lo_u32 v6, v4, s19
	v_mul_hi_u32 v7, s23, v4
	v_sub_u32_e32 v1, v1, v6
	v_add_u32_e32 v6, v4, v7
	v_mul_lo_u32 v5, v3, s9
	v_mul_lo_u32 v3, v3, s8
	;; [unrolled: 1-line block ×4, first 2 shown]
	v_lshrrev_b32_e32 v6, s0, v6
	v_add3_u32 v0, v3, v0, v1
	v_mul_hi_u32 v3, s2, v6
	v_add_u32_e32 v3, v6, v3
	v_lshrrev_b32_e32 v3, s3, v3
	s_add_i32 s51, s51, 4
	v_add3_u32 v1, v5, v2, v7
	v_mul_lo_u32 v2, v6, s22
	v_mul_lo_u32 v5, v3, s1
	s_add_u32 s54, s54, 32
	v_sub_u32_e32 v2, v4, v2
	v_sub_u32_e32 v5, v6, v5
	s_addc_u32 s55, s55, 0
	v_mul_lo_u32 v4, v2, s12
	v_mul_lo_u32 v2, v2, s13
	;; [unrolled: 1-line block ×4, first 2 shown]
	s_cmp_eq_u32 s50, s51
	v_add3_u32 v2, v2, v1, v5
	v_add3_u32 v0, v4, v0, v6
	s_cbranch_scc0 .LBB7_169
; %bb.170:
	v_mov_b32_e32 v1, v2
	s_branch .LBB7_201
.LBB7_171:
                                        ; implicit-def: $vgpr2
                                        ; implicit-def: $vgpr0
	s_branch .LBB7_206
.LBB7_172:
	s_mov_b32 s51, s50
	v_pk_mov_b32 v[0:1], s[50:51], s[50:51] op_sel:[0,1]
                                        ; implicit-def: $vgpr2
	v_mov_b32_e32 v3, v22
.LBB7_173:
	s_and_b32 s8, s59, 3
	s_cmp_eq_u32 s8, 0
	s_cbranch_scc1 .LBB7_177
; %bb.174:
	s_lshl_b32 s0, s50, 3
	s_add_u32 s0, s0, s4
	s_addc_u32 s1, s5, 0
	s_add_u32 s0, s0, 0xc4
	s_addc_u32 s1, s1, 0
	s_mul_i32 s2, s50, 12
	s_add_u32 s2, s4, s2
	s_addc_u32 s3, s5, 0
.LBB7_175:                              ; =>This Inner Loop Header: Depth=1
	s_load_dwordx2 s[10:11], s[2:3], 0x4
	s_load_dword s9, s[2:3], 0xc
	s_load_dwordx2 s[12:13], s[0:1], 0x0
	v_mov_b32_e32 v2, v1
	s_add_u32 s2, s2, 12
	s_waitcnt lgkmcnt(0)
	v_mul_hi_u32 v1, s11, v3
	v_add_u32_e32 v1, v3, v1
	v_lshrrev_b32_e32 v1, s9, v1
	s_addc_u32 s3, s3, 0
	v_mul_lo_u32 v4, v1, s10
	s_add_u32 s0, s0, 8
	v_sub_u32_e32 v6, v3, v4
	v_mov_b32_e32 v3, v1
	s_addc_u32 s1, s1, 0
	s_add_i32 s8, s8, -1
	v_mad_u64_u32 v[4:5], s[10:11], v6, s13, v[2:3]
	v_mad_u64_u32 v[0:1], s[10:11], v6, s12, v[0:1]
	s_cmp_lg_u32 s8, 0
	v_mov_b32_e32 v1, v4
	s_cbranch_scc1 .LBB7_175
; %bb.176:
	v_mov_b32_e32 v2, v1
.LBB7_177:
	s_cbranch_execnz .LBB7_180
.LBB7_178:
	s_waitcnt lgkmcnt(0)
	v_mul_hi_u32 v0, s37, v22
	v_add_u32_e32 v0, v22, v0
	v_lshrrev_b32_e32 v1, s38, v0
	v_mul_lo_u32 v0, v1, s36
	v_sub_u32_e32 v0, v22, v0
	v_mul_lo_u32 v2, v0, s29
	s_andn2_b64 vcc, exec, s[42:43]
	v_mul_lo_u32 v0, v0, s28
	s_cbranch_vccnz .LBB7_180
; %bb.179:
	v_mul_hi_u32 v3, s40, v1
	v_add_u32_e32 v3, v1, v3
	v_lshrrev_b32_e32 v3, s41, v3
	v_mul_lo_u32 v3, v3, s39
	v_sub_u32_e32 v3, v1, v3
	v_mad_u64_u32 v[0:1], s[0:1], v3, s30, v[0:1]
	v_mad_u64_u32 v[2:3], s[0:1], v3, s31, v[2:3]
.LBB7_180:
	s_waitcnt lgkmcnt(0)
	global_load_dwordx2 v[2:3], v2, s[26:27]
	s_mov_b32 s0, 0
	s_mov_b32 s1, 0x40140000
                                        ; implicit-def: $vgpr4_vgpr5
	s_waitcnt vmcnt(0)
	v_xor_b32_e32 v1, 0x80000000, v3
	v_cmp_gt_f64_e32 vcc, 0, v[2:3]
	v_cndmask_b32_e32 v3, v3, v1, vcc
	v_cndmask_b32_e32 v2, v2, v2, vcc
	v_cmp_ge_f64_e32 vcc, s[0:1], v[2:3]
	v_mul_f64 v[6:7], v[2:3], v[2:3]
	s_and_saveexec_b64 s[0:1], vcc
	s_xor_b64 s[0:1], exec, s[0:1]
	s_cbranch_execz .LBB7_186
; %bb.181:
	s_mov_b32 s2, 0x88e368f1
	s_mov_b32 s3, 0x3ee4f8b5
	v_cmp_ngt_f64_e32 vcc, s[2:3], v[2:3]
                                        ; implicit-def: $vgpr4_vgpr5
	s_and_saveexec_b64 s[2:3], vcc
	s_xor_b64 s[2:3], exec, s[2:3]
	s_cbranch_execz .LBB7_183
; %bb.182:
	v_mov_b32_e32 v2, 0xad1c8325
	v_mov_b32_e32 v3, 0xc1f1dc53
	v_fmac_f64_e32 v[2:3], 0, v[6:7]
	v_mov_b32_e32 v4, 0xc772990d
	v_mov_b32_e32 v5, 0x427c7751
	v_fmac_f64_e32 v[4:5], v[6:7], v[2:3]
	;; [unrolled: 3-line block ×10, first 2 shown]
	v_mov_b32_e32 v8, 0xc7b662cc
	v_mov_b32_e32 v9, 0x43b7be34
	s_mov_b32 s8, 0x80462bbb
	v_fmac_f64_e32 v[8:9], v[6:7], v[4:5]
	v_mov_b32_e32 v4, 0x69ff5fb4
	v_mov_b32_e32 v5, 0x43413ef8
	s_mov_b32 s9, 0xc01721fb
	v_fmac_f64_e32 v[4:5], v[6:7], v[2:3]
	v_add_f64 v[2:3], v[6:7], s[8:9]
	s_mov_b32 s8, 0xa621dd6f
	s_mov_b32 s9, 0xc03e78a4
	v_add_f64 v[6:7], v[6:7], s[8:9]
	v_mul_f64 v[2:3], v[2:3], v[6:7]
	v_mul_f64 v[2:3], v[2:3], v[4:5]
	v_div_scale_f64 v[4:5], s[8:9], v[8:9], v[8:9], v[2:3]
	v_rcp_f64_e32 v[6:7], v[4:5]
	v_fma_f64 v[10:11], -v[4:5], v[6:7], 1.0
	v_fmac_f64_e32 v[6:7], v[6:7], v[10:11]
	v_fma_f64 v[10:11], -v[4:5], v[6:7], 1.0
	v_fmac_f64_e32 v[6:7], v[6:7], v[10:11]
	v_div_scale_f64 v[10:11], vcc, v[2:3], v[8:9], v[2:3]
	v_mul_f64 v[12:13], v[10:11], v[6:7]
	v_fma_f64 v[4:5], -v[4:5], v[12:13], v[10:11]
	s_nop 1
	v_div_fmas_f64 v[4:5], v[4:5], v[6:7], v[12:13]
	v_div_fixup_f64 v[4:5], v[4:5], v[8:9], v[2:3]
                                        ; implicit-def: $vgpr6_vgpr7
.LBB7_183:
	s_andn2_saveexec_b64 s[2:3], s[2:3]
; %bb.184:
	s_mov_b32 s8, 0
	s_mov_b32 s9, 0xbfd00000
	v_fma_f64 v[4:5], v[6:7], s[8:9], 1.0
; %bb.185:
	s_or_b64 exec, exec, s[2:3]
                                        ; implicit-def: $vgpr6_vgpr7
                                        ; implicit-def: $vgpr2_vgpr3
.LBB7_186:
	s_andn2_saveexec_b64 s[2:3], s[0:1]
	s_cbranch_execz .LBB7_196
; %bb.187:
	s_mov_b32 s11, 0xbfe921fb
	s_mov_b32 s10, 0x54442d18
	;; [unrolled: 1-line block ×3, first 2 shown]
	v_add_f64 v[4:5], v[2:3], s[10:11]
	s_mov_b32 s1, 0x41d00000
	v_cmp_nlt_f64_e64 s[8:9], |v[4:5]|, s[0:1]
                                        ; implicit-def: $vgpr1
                                        ; implicit-def: $vgpr8_vgpr9
                                        ; implicit-def: $vgpr10_vgpr11
	s_and_saveexec_b64 s[0:1], s[8:9]
	s_xor_b64 s[12:13], exec, s[0:1]
	s_cbranch_execz .LBB7_189
; %bb.188:
	s_mov_b32 s0, 0
	s_mov_b32 s1, 0x7b000000
	s_movk_i32 s11, 0xff80
	v_and_b32_e32 v1, 0x7fffffff, v5
	v_ldexp_f64 v[12:13], |v[4:5]|, s11
	v_cmp_ge_f64_e64 vcc, |v[4:5]|, s[0:1]
	v_trig_preop_f64 v[8:9], |v[4:5]|, 0
	v_cndmask_b32_e32 v13, v1, v13, vcc
	v_cndmask_b32_e32 v12, v4, v12, vcc
	v_trig_preop_f64 v[10:11], |v[4:5]|, 1
	v_mul_f64 v[16:17], v[8:9], v[12:13]
	v_mul_f64 v[14:15], v[10:11], v[12:13]
	v_fma_f64 v[8:9], v[8:9], v[12:13], -v[16:17]
	v_add_f64 v[18:19], v[14:15], v[8:9]
	v_add_f64 v[20:21], v[16:17], v[18:19]
	s_mov_b32 s0, 0
	v_ldexp_f64 v[24:25], v[20:21], -2
	s_mov_b32 s1, 0x7ff00000
	v_fract_f64_e32 v[26:27], v[24:25]
	v_cmp_neq_f64_e64 vcc, |v[24:25]|, s[0:1]
	v_cndmask_b32_e32 v25, 0, v27, vcc
	v_cndmask_b32_e32 v24, 0, v26, vcc
	v_add_f64 v[26:27], v[18:19], -v[14:15]
	v_add_f64 v[8:9], v[8:9], -v[26:27]
	v_add_f64 v[26:27], v[18:19], -v[26:27]
	v_add_f64 v[26:27], v[14:15], -v[26:27]
	v_fma_f64 v[10:11], v[10:11], v[12:13], -v[14:15]
	v_trig_preop_f64 v[14:15], |v[4:5]|, 2
	v_add_f64 v[8:9], v[8:9], v[26:27]
	v_mul_f64 v[26:27], v[14:15], v[12:13]
	v_add_f64 v[30:31], v[26:27], v[10:11]
	v_add_f64 v[32:33], v[30:31], v[8:9]
	v_add_f64 v[16:17], v[20:21], -v[16:17]
	v_add_f64 v[20:21], v[32:33], -v[30:31]
	;; [unrolled: 1-line block ×5, first 2 shown]
	v_add_f64 v[8:9], v[8:9], v[20:21]
	v_add_f64 v[20:21], v[30:31], -v[26:27]
	v_add_f64 v[10:11], v[10:11], -v[20:21]
	;; [unrolled: 1-line block ×4, first 2 shown]
	v_add_f64 v[10:11], v[10:11], v[20:21]
	v_add_f64 v[16:17], v[18:19], -v[16:17]
	v_add_f64 v[8:9], v[10:11], v[8:9]
	v_fma_f64 v[10:11], v[14:15], v[12:13], -v[26:27]
	v_add_f64 v[18:19], v[16:17], v[32:33]
	v_add_f64 v[8:9], v[10:11], v[8:9]
	v_ldexp_f64 v[10:11], v[24:25], 2
	v_add_f64 v[12:13], v[18:19], v[10:11]
	v_mov_b32_e32 v1, 0x40100000
	v_cmp_gt_f64_e32 vcc, 0, v[12:13]
	v_mov_b32_e32 v28, 0
	v_cndmask_b32_e32 v29, 0, v1, vcc
	v_add_f64 v[10:11], v[10:11], v[28:29]
	v_add_f64 v[12:13], v[18:19], v[10:11]
	v_cvt_i32_f64_e32 v1, v[12:13]
	v_cvt_f64_i32_e32 v[12:13], v1
	v_add_f64 v[10:11], v[10:11], -v[12:13]
	v_add_f64 v[16:17], v[18:19], -v[16:17]
	v_add_f64 v[12:13], v[18:19], v[10:11]
	v_add_f64 v[16:17], v[32:33], -v[16:17]
	v_add_f64 v[10:11], v[12:13], -v[10:11]
	v_add_f64 v[8:9], v[16:17], v[8:9]
	v_add_f64 v[10:11], v[18:19], -v[10:11]
	v_add_f64 v[8:9], v[8:9], v[10:11]
	v_cmp_le_f64_e32 vcc, 0.5, v[12:13]
	v_mov_b32_e32 v10, 0x3ff00000
	v_cndmask_b32_e32 v29, 0, v10, vcc
	v_add_f64 v[10:11], v[12:13], -v[28:29]
	v_add_f64 v[12:13], v[10:11], v[8:9]
	v_addc_co_u32_e64 v1, s[0:1], 0, v1, vcc
	v_add_f64 v[10:11], v[12:13], -v[10:11]
	s_mov_b32 s11, 0x3ff921fb
	v_add_f64 v[8:9], v[8:9], -v[10:11]
	v_mul_f64 v[10:11], v[12:13], s[10:11]
	s_mov_b32 s0, 0x33145c07
	v_fma_f64 v[14:15], v[12:13], s[10:11], -v[10:11]
	s_mov_b32 s1, 0x3c91a626
	v_fmac_f64_e32 v[14:15], s[0:1], v[12:13]
	v_fmac_f64_e32 v[14:15], s[10:11], v[8:9]
	v_add_f64 v[8:9], v[10:11], v[14:15]
	v_add_f64 v[10:11], v[8:9], -v[10:11]
	v_add_f64 v[10:11], v[14:15], -v[10:11]
	s_andn2_saveexec_b64 s[0:1], s[12:13]
	s_cbranch_execz .LBB7_191
	s_branch .LBB7_190
.LBB7_189:
	s_andn2_saveexec_b64 s[0:1], s[12:13]
	s_cbranch_execz .LBB7_191
.LBB7_190:
	s_mov_b32 s10, 0x6dc9c883
	s_mov_b32 s11, 0x3fe45f30
	v_mul_f64 v[8:9], |v[4:5]|, s[10:11]
	s_mov_b32 s10, 0x54442d18
	v_rndne_f64_e32 v[12:13], v[8:9]
	s_mov_b32 s11, 0xbff921fb
	v_fma_f64 v[8:9], v[12:13], s[10:11], |v[4:5]|
	s_mov_b32 s11, 0xbc91a626
	s_mov_b32 s10, 0x33145c00
	v_mul_f64 v[14:15], v[12:13], s[10:11]
	v_add_f64 v[18:19], v[8:9], v[14:15]
	v_fma_f64 v[10:11], s[10:11], v[12:13], v[8:9]
	s_mov_b32 s11, 0x3c91a626
	v_add_f64 v[8:9], v[8:9], -v[18:19]
	v_fma_f64 v[16:17], s[10:11], v[12:13], v[14:15]
	v_add_f64 v[8:9], v[8:9], v[14:15]
	v_add_f64 v[14:15], v[18:19], -v[10:11]
	v_add_f64 v[8:9], v[14:15], v[8:9]
	s_mov_b32 s10, 0x252049c0
	v_add_f64 v[14:15], v[8:9], -v[16:17]
	s_mov_b32 s11, 0xb97b839a
	v_fmac_f64_e32 v[14:15], s[10:11], v[12:13]
	v_add_f64 v[8:9], v[10:11], v[14:15]
	v_add_f64 v[10:11], v[8:9], -v[10:11]
	v_add_f64 v[10:11], v[14:15], -v[10:11]
	v_cvt_i32_f64_e32 v1, v[12:13]
.LBB7_191:
	s_or_b64 exec, exec, s[0:1]
                                        ; implicit-def: $vgpr23
                                        ; implicit-def: $vgpr12_vgpr13
                                        ; implicit-def: $vgpr14_vgpr15
	s_and_saveexec_b64 s[0:1], s[8:9]
	s_xor_b64 s[8:9], exec, s[0:1]
	s_cbranch_execz .LBB7_193
; %bb.192:
	s_mov_b32 s0, 0
	s_mov_b32 s1, 0x7b000000
	s_movk_i32 s10, 0xff80
	v_and_b32_e32 v18, 0x7fffffff, v5
	v_ldexp_f64 v[16:17], |v[4:5]|, s10
	v_cmp_ge_f64_e64 vcc, |v[4:5]|, s[0:1]
	v_trig_preop_f64 v[12:13], |v[4:5]|, 0
	v_cndmask_b32_e32 v17, v18, v17, vcc
	v_cndmask_b32_e32 v16, v4, v16, vcc
	v_trig_preop_f64 v[14:15], |v[4:5]|, 1
	v_mul_f64 v[20:21], v[12:13], v[16:17]
	v_mul_f64 v[18:19], v[14:15], v[16:17]
	v_fma_f64 v[12:13], v[12:13], v[16:17], -v[20:21]
	v_add_f64 v[24:25], v[18:19], v[12:13]
	v_add_f64 v[26:27], v[20:21], v[24:25]
	s_mov_b32 s0, 0
	v_ldexp_f64 v[28:29], v[26:27], -2
	s_mov_b32 s1, 0x7ff00000
	v_fract_f64_e32 v[30:31], v[28:29]
	v_cmp_neq_f64_e64 vcc, |v[28:29]|, s[0:1]
	v_cndmask_b32_e32 v29, 0, v31, vcc
	v_cndmask_b32_e32 v28, 0, v30, vcc
	v_add_f64 v[30:31], v[24:25], -v[18:19]
	v_add_f64 v[12:13], v[12:13], -v[30:31]
	;; [unrolled: 1-line block ×4, first 2 shown]
	v_fma_f64 v[14:15], v[14:15], v[16:17], -v[18:19]
	v_trig_preop_f64 v[18:19], |v[4:5]|, 2
	v_add_f64 v[12:13], v[12:13], v[30:31]
	v_mul_f64 v[30:31], v[18:19], v[16:17]
	v_add_f64 v[34:35], v[30:31], v[14:15]
	v_add_f64 v[36:37], v[34:35], v[12:13]
	v_add_f64 v[20:21], v[26:27], -v[20:21]
	v_add_f64 v[26:27], v[36:37], -v[34:35]
	v_add_f64 v[12:13], v[12:13], -v[26:27]
	v_add_f64 v[26:27], v[36:37], -v[26:27]
	v_add_f64 v[26:27], v[34:35], -v[26:27]
	v_add_f64 v[12:13], v[12:13], v[26:27]
	v_add_f64 v[26:27], v[34:35], -v[30:31]
	v_add_f64 v[14:15], v[14:15], -v[26:27]
	;; [unrolled: 1-line block ×4, first 2 shown]
	v_add_f64 v[14:15], v[14:15], v[26:27]
	v_add_f64 v[20:21], v[24:25], -v[20:21]
	v_add_f64 v[12:13], v[14:15], v[12:13]
	v_fma_f64 v[14:15], v[18:19], v[16:17], -v[30:31]
	v_add_f64 v[24:25], v[20:21], v[36:37]
	v_add_f64 v[12:13], v[14:15], v[12:13]
	v_ldexp_f64 v[14:15], v[28:29], 2
	v_add_f64 v[16:17], v[24:25], v[14:15]
	v_mov_b32_e32 v18, 0x40100000
	v_cmp_gt_f64_e32 vcc, 0, v[16:17]
	v_mov_b32_e32 v32, 0
	v_cndmask_b32_e32 v33, 0, v18, vcc
	v_add_f64 v[14:15], v[14:15], v[32:33]
	v_add_f64 v[16:17], v[24:25], v[14:15]
	v_cvt_i32_f64_e32 v18, v[16:17]
	v_cvt_f64_i32_e32 v[16:17], v18
	v_add_f64 v[14:15], v[14:15], -v[16:17]
	v_add_f64 v[20:21], v[24:25], -v[20:21]
	v_add_f64 v[16:17], v[24:25], v[14:15]
	v_add_f64 v[20:21], v[36:37], -v[20:21]
	v_add_f64 v[14:15], v[16:17], -v[14:15]
	v_add_f64 v[12:13], v[20:21], v[12:13]
	v_add_f64 v[14:15], v[24:25], -v[14:15]
	v_add_f64 v[12:13], v[12:13], v[14:15]
	v_cmp_le_f64_e32 vcc, 0.5, v[16:17]
	v_mov_b32_e32 v14, 0x3ff00000
	v_cndmask_b32_e32 v33, 0, v14, vcc
	v_addc_co_u32_e64 v23, s[0:1], 0, v18, vcc
	v_add_f64 v[14:15], v[16:17], -v[32:33]
	v_add_f64 v[16:17], v[14:15], v[12:13]
	s_mov_b32 s0, 0x54442d18
	v_add_f64 v[14:15], v[16:17], -v[14:15]
	s_mov_b32 s1, 0x3ff921fb
	v_add_f64 v[12:13], v[12:13], -v[14:15]
	v_mul_f64 v[14:15], v[16:17], s[0:1]
	s_mov_b32 s10, 0x33145c07
	v_fma_f64 v[18:19], v[16:17], s[0:1], -v[14:15]
	s_mov_b32 s11, 0x3c91a626
	v_fmac_f64_e32 v[18:19], s[10:11], v[16:17]
	v_fmac_f64_e32 v[18:19], s[0:1], v[12:13]
	v_add_f64 v[12:13], v[14:15], v[18:19]
	v_add_f64 v[14:15], v[12:13], -v[14:15]
	v_add_f64 v[14:15], v[18:19], -v[14:15]
	s_andn2_saveexec_b64 s[0:1], s[8:9]
	s_cbranch_execnz .LBB7_194
	s_branch .LBB7_195
.LBB7_193:
	s_andn2_saveexec_b64 s[0:1], s[8:9]
	s_cbranch_execz .LBB7_195
.LBB7_194:
	s_mov_b32 s8, 0x6dc9c883
	s_mov_b32 s9, 0x3fe45f30
	v_mul_f64 v[12:13], |v[4:5]|, s[8:9]
	s_mov_b32 s8, 0x54442d18
	v_rndne_f64_e32 v[16:17], v[12:13]
	s_mov_b32 s9, 0xbff921fb
	v_fma_f64 v[12:13], v[16:17], s[8:9], |v[4:5]|
	s_mov_b32 s9, 0xbc91a626
	s_mov_b32 s8, 0x33145c00
	v_mul_f64 v[18:19], v[16:17], s[8:9]
	v_add_f64 v[24:25], v[12:13], v[18:19]
	v_fma_f64 v[14:15], s[8:9], v[16:17], v[12:13]
	s_mov_b32 s9, 0x3c91a626
	v_add_f64 v[12:13], v[12:13], -v[24:25]
	v_fma_f64 v[20:21], s[8:9], v[16:17], v[18:19]
	v_add_f64 v[12:13], v[12:13], v[18:19]
	v_add_f64 v[18:19], v[24:25], -v[14:15]
	v_add_f64 v[12:13], v[18:19], v[12:13]
	s_mov_b32 s8, 0x252049c0
	v_add_f64 v[18:19], v[12:13], -v[20:21]
	s_mov_b32 s9, 0xb97b839a
	v_fmac_f64_e32 v[18:19], s[8:9], v[16:17]
	v_add_f64 v[12:13], v[14:15], v[18:19]
	v_add_f64 v[14:15], v[12:13], -v[14:15]
	v_add_f64 v[14:15], v[18:19], -v[14:15]
	v_cvt_i32_f64_e32 v23, v[16:17]
.LBB7_195:
	s_or_b64 exec, exec, s[0:1]
	s_mov_b32 s0, 0
	s_mov_b32 s1, 0x40390000
	v_div_scale_f64 v[16:17], s[8:9], v[6:7], v[6:7], s[0:1]
	v_rcp_f64_e32 v[18:19], v[16:17]
	v_mov_b32_e32 v26, 0x55b218cd
	v_mov_b32_e32 v27, 0xc049b48c
	s_mov_b32 s8, 0x46cc5e42
	v_fma_f64 v[20:21], -v[16:17], v[18:19], 1.0
	v_fmac_f64_e32 v[18:19], v[18:19], v[20:21]
	v_fma_f64 v[20:21], -v[16:17], v[18:19], 1.0
	v_fmac_f64_e32 v[18:19], v[18:19], v[20:21]
	v_div_scale_f64 v[20:21], vcc, s[0:1], v[6:7], s[0:1]
	v_mul_f64 v[24:25], v[20:21], v[18:19]
	v_fma_f64 v[16:17], -v[16:17], v[24:25], v[20:21]
	v_mov_b32_e32 v20, 0xab5454e3
	s_nop 0
	v_div_fmas_f64 v[16:17], v[16:17], v[18:19], v[24:25]
	v_div_fixup_f64 v[16:17], v[16:17], v[6:7], s[0:1]
	v_mov_b32_e32 v6, 0x983b6b27
	v_mov_b32_e32 v7, 0x3f4a1d30
	v_fmac_f64_e32 v[6:7], 0, v[16:17]
	v_mov_b32_e32 v18, 0xb35dd1cf
	v_mov_b32_e32 v19, 0x3fb534b0
	v_fmac_f64_e32 v[18:19], v[16:17], v[6:7]
	;; [unrolled: 3-line block ×7, first 2 shown]
	v_mov_b32_e32 v21, 0x3fb5ebc5
	v_fmac_f64_e32 v[20:21], v[16:17], v[6:7]
	v_mov_b32_e32 v6, 0xc9b3069f
	v_mov_b32_e32 v7, 0x3ff40e72
	v_fmac_f64_e32 v[6:7], v[16:17], v[20:21]
	v_mov_b32_e32 v20, 0xe68162bb
	;; [unrolled: 3-line block ×10, first 2 shown]
	v_mov_b32_e32 v25, 0xc062627a
	v_fmac_f64_e32 v[24:25], v[16:17], v[6:7]
	v_fmac_f64_e32 v[26:27], v[16:17], v[24:25]
	v_mov_b32_e32 v6, 0xd1b9a1dd
	v_mov_b32_e32 v7, 0xc0183358
	;; [unrolled: 1-line block ×4, first 2 shown]
	v_fmac_f64_e32 v[6:7], v[16:17], v[26:27]
	v_fmac_f64_e32 v[24:25], 0, v[16:17]
	v_mov_b32_e32 v26, 0xb1759c7f
	v_mov_b32_e32 v27, 0x408ac370
	v_fmac_f64_e32 v[26:27], v[16:17], v[24:25]
	v_mov_b32_e32 v24, 0xbd748cb5
	v_mov_b32_e32 v25, 0x40ae54cd
	;; [unrolled: 3-line block ×5, first 2 shown]
	v_fma_f64 v[20:21], v[16:17], v[20:21], 1.0
	v_fmac_f64_e32 v[26:27], v[16:17], v[24:25]
	v_fma_f64 v[24:25], v[16:17], v[18:19], 1.0
	v_div_scale_f64 v[28:29], s[0:1], v[20:21], v[20:21], v[24:25]
	v_rcp_f64_e32 v[30:31], v[28:29]
	v_mov_b32_e32 v18, 0x6280a54
	v_mov_b32_e32 v19, 0x406e402f
	v_fmac_f64_e32 v[18:19], v[16:17], v[26:27]
	v_fma_f64 v[16:17], -v[28:29], v[30:31], 1.0
	v_fmac_f64_e32 v[30:31], v[30:31], v[16:17]
	v_fma_f64 v[16:17], -v[28:29], v[30:31], 1.0
	v_fmac_f64_e32 v[30:31], v[30:31], v[16:17]
	v_div_scale_f64 v[16:17], vcc, v[24:25], v[20:21], v[24:25]
	v_mul_f64 v[26:27], v[16:17], v[30:31]
	v_fma_f64 v[16:17], -v[28:29], v[26:27], v[16:17]
	s_mov_b32 s0, 0x9037ab78
	s_nop 0
	v_div_fmas_f64 v[16:17], v[16:17], v[30:31], v[26:27]
	v_div_fixup_f64 v[16:17], v[16:17], v[20:21], v[24:25]
	v_mul_f64 v[24:25], v[8:9], v[8:9]
	v_mul_f64 v[20:21], v[24:25], 0.5
	v_add_f64 v[26:27], -v[20:21], 1.0
	v_add_f64 v[28:29], -v[26:27], 1.0
	s_mov_b32 s1, 0x3e21eeb6
	v_add_f64 v[28:29], v[28:29], -v[20:21]
	s_mov_b32 s9, 0xbda907db
	v_pk_mov_b32 v[20:21], s[0:1], s[0:1] op_sel:[0,1]
	s_mov_b32 s10, 0xa17f65f6
	v_fma_f64 v[32:33], s[8:9], v[24:25], v[20:21]
	s_mov_b32 s11, 0xbe927e4f
	s_mov_b32 s12, 0x19f4ec90
	v_fma_f64 v[32:33], v[24:25], v[32:33], s[10:11]
	s_mov_b32 s13, 0x3efa01a0
	;; [unrolled: 3-line block ×4, first 2 shown]
	v_mul_f64 v[30:31], v[24:25], v[24:25]
	v_fma_f64 v[32:33], v[24:25], v[32:33], s[16:17]
	v_fma_f64 v[28:29], v[8:9], -v[10:11], v[28:29]
	s_mov_b32 s0, 0xb42fdfa7
	v_fmac_f64_e32 v[28:29], v[30:31], v[32:33]
	s_mov_b32 s1, 0xbe5ae600
	s_mov_b32 s18, 0xf9a43bb8
	v_add_f64 v[26:27], v[26:27], v[28:29]
	s_mov_b32 s19, 0x3de5e0b2
	v_pk_mov_b32 v[28:29], s[0:1], s[0:1] op_sel:[0,1]
	s_mov_b32 s20, 0x796cde01
	v_fma_f64 v[30:31], s[18:19], v[24:25], v[28:29]
	s_mov_b32 s21, 0x3ec71de3
	s_mov_b32 s22, 0x19e83e5c
	v_fma_f64 v[30:31], v[24:25], v[30:31], s[20:21]
	s_mov_b32 s23, 0xbf2a01a0
	;; [unrolled: 3-line block ×3, first 2 shown]
	v_fma_f64 v[30:31], v[24:25], v[30:31], s[50:51]
	v_mul_f64 v[32:33], v[8:9], -v[24:25]
	v_mul_f64 v[34:35], v[10:11], 0.5
	v_fmac_f64_e32 v[34:35], v[32:33], v[30:31]
	v_fma_f64 v[10:11], v[24:25], v[34:35], -v[10:11]
	s_mov_b32 s53, 0xbfc55555
	s_mov_b32 s52, s16
	v_fmac_f64_e32 v[10:11], s[52:53], v[32:33]
	v_add_f64 v[8:9], v[8:9], -v[10:11]
	v_and_b32_e32 v10, 1, v1
	v_xor_b32_e32 v9, 0x80000000, v9
	v_cmp_eq_u32_e32 vcc, 0, v10
	v_lshlrev_b32_e32 v1, 30, v1
	s_mov_b32 s54, 0
	v_cndmask_b32_e32 v24, v8, v26, vcc
	v_cndmask_b32_e32 v8, v9, v27, vcc
	v_and_b32_e32 v1, 0x80000000, v1
	s_mov_b32 s55, 0xc0140000
	v_xor_b32_e32 v1, v8, v1
	v_div_scale_f64 v[8:9], s[0:1], v[2:3], v[2:3], s[54:55]
	v_rcp_f64_e32 v[10:11], v[8:9]
	s_movk_i32 s59, 0x1f8
	v_cmp_class_f64_e64 s[0:1], v[4:5], s59
	v_mov_b32_e32 v34, 0x7ff80000
	v_fma_f64 v[26:27], -v[8:9], v[10:11], 1.0
	v_fmac_f64_e32 v[10:11], v[10:11], v[26:27]
	v_fma_f64 v[26:27], -v[8:9], v[10:11], 1.0
	v_fmac_f64_e32 v[10:11], v[10:11], v[26:27]
	v_div_scale_f64 v[26:27], vcc, s[54:55], v[2:3], s[54:55]
	v_mul_f64 v[30:31], v[26:27], v[10:11]
	v_fma_f64 v[8:9], -v[8:9], v[30:31], v[26:27]
	v_div_scale_f64 v[26:27], s[60:61], v[18:19], v[18:19], v[6:7]
	v_rcp_f64_e32 v[32:33], v[26:27]
	v_div_fmas_f64 v[8:9], v[8:9], v[10:11], v[30:31]
	v_div_fixup_f64 v[8:9], v[8:9], v[2:3], s[54:55]
	v_cndmask_b32_e64 v25, v34, v1, s[0:1]
	v_fma_f64 v[10:11], -v[26:27], v[32:33], 1.0
	v_fmac_f64_e32 v[32:33], v[32:33], v[10:11]
	v_fma_f64 v[10:11], -v[26:27], v[32:33], 1.0
	v_fmac_f64_e32 v[32:33], v[32:33], v[10:11]
	v_div_scale_f64 v[10:11], vcc, v[6:7], v[18:19], v[6:7]
	v_mul_f64 v[30:31], v[10:11], v[32:33]
	v_fma_f64 v[10:11], -v[26:27], v[30:31], v[10:11]
	v_and_b32_e32 v1, 1, v23
	s_nop 0
	v_div_fmas_f64 v[10:11], v[10:11], v[32:33], v[30:31]
	v_div_fixup_f64 v[6:7], v[10:11], v[18:19], v[6:7]
	v_mul_f64 v[6:7], v[8:9], v[6:7]
	v_mul_f64 v[8:9], v[12:13], v[12:13]
	v_mul_f64 v[10:11], v[8:9], 0.5
	v_fmac_f64_e32 v[20:21], s[8:9], v[8:9]
	v_add_f64 v[18:19], -v[10:11], 1.0
	v_fma_f64 v[20:21], v[8:9], v[20:21], s[10:11]
	v_add_f64 v[26:27], -v[18:19], 1.0
	v_fma_f64 v[20:21], v[8:9], v[20:21], s[12:13]
	v_add_f64 v[10:11], v[26:27], -v[10:11]
	v_fma_f64 v[20:21], v[8:9], v[20:21], s[14:15]
	v_mul_f64 v[26:27], v[8:9], v[8:9]
	v_fma_f64 v[20:21], v[8:9], v[20:21], s[16:17]
	v_fma_f64 v[10:11], v[12:13], -v[14:15], v[10:11]
	v_fmac_f64_e32 v[10:11], v[26:27], v[20:21]
	v_fmac_f64_e32 v[28:29], s[18:19], v[8:9]
	v_add_f64 v[10:11], v[18:19], v[10:11]
	v_fma_f64 v[18:19], v[8:9], v[28:29], s[20:21]
	v_fma_f64 v[18:19], v[8:9], v[18:19], s[22:23]
	;; [unrolled: 1-line block ×3, first 2 shown]
	v_mul_f64 v[20:21], v[12:13], -v[8:9]
	v_mul_f64 v[26:27], v[14:15], 0.5
	v_fmac_f64_e32 v[26:27], v[20:21], v[18:19]
	v_fma_f64 v[8:9], v[8:9], v[26:27], -v[14:15]
	v_fmac_f64_e32 v[8:9], s[52:53], v[20:21]
	v_add_f64 v[8:9], v[12:13], -v[8:9]
	v_cmp_eq_u32_e32 vcc, 0, v1
	v_cndmask_b32_e32 v1, v10, v8, vcc
	v_lshlrev_b32_e32 v8, 30, v23
	v_xor_b32_e32 v5, v8, v5
	v_cndmask_b32_e32 v4, v11, v9, vcc
	v_and_b32_e32 v5, 0x80000000, v5
	v_xor_b32_e32 v5, v4, v5
	v_cndmask_b32_e64 v24, 0, v24, s[0:1]
	v_cndmask_b32_e64 v4, 0, v1, s[0:1]
	v_cndmask_b32_e64 v5, v34, v5, s[0:1]
	s_mov_b32 s0, 0
	s_brev_b32 s1, 8
	v_cmp_gt_f64_e32 vcc, s[0:1], v[2:3]
	v_cndmask_b32_e64 v1, 0, 1, vcc
	v_lshlrev_b32_e32 v1, 8, v1
	v_ldexp_f64 v[2:3], v[2:3], v1
	v_mul_f64 v[4:5], v[6:7], v[4:5]
	v_rsq_f64_e32 v[6:7], v[2:3]
	v_mov_b32_e32 v1, 0xffffff80
	v_cndmask_b32_e32 v1, 0, v1, vcc
	s_mov_b32 s0, 0x33d43651
	v_mul_f64 v[8:9], v[2:3], v[6:7]
	v_mul_f64 v[6:7], v[6:7], 0.5
	v_fma_f64 v[10:11], -v[6:7], v[8:9], 0.5
	v_fmac_f64_e32 v[8:9], v[8:9], v[10:11]
	v_fma_f64 v[12:13], -v[8:9], v[8:9], v[2:3]
	v_fmac_f64_e32 v[6:7], v[6:7], v[10:11]
	v_fmac_f64_e32 v[8:9], v[12:13], v[6:7]
	v_fma_f64 v[10:11], -v[8:9], v[8:9], v[2:3]
	v_fmac_f64_e32 v[8:9], v[10:11], v[6:7]
	v_ldexp_f64 v[6:7], v[8:9], v1
	v_mov_b32_e32 v1, 0x260
	v_fmac_f64_e32 v[4:5], v[16:17], v[24:25]
	s_mov_b32 s1, 0x3fe98845
	v_cmp_class_f64_e32 vcc, v[2:3], v1
	v_mul_f64 v[4:5], v[4:5], s[0:1]
	v_cndmask_b32_e32 v3, v7, v3, vcc
	v_cndmask_b32_e32 v2, v6, v2, vcc
	v_div_scale_f64 v[6:7], s[0:1], v[2:3], v[2:3], v[4:5]
	v_rcp_f64_e32 v[8:9], v[6:7]
	v_fma_f64 v[10:11], -v[6:7], v[8:9], 1.0
	v_fmac_f64_e32 v[8:9], v[8:9], v[10:11]
	v_fma_f64 v[10:11], -v[6:7], v[8:9], 1.0
	v_fmac_f64_e32 v[8:9], v[8:9], v[10:11]
	v_div_scale_f64 v[10:11], vcc, v[4:5], v[2:3], v[4:5]
	v_mul_f64 v[12:13], v[10:11], v[8:9]
	v_fma_f64 v[6:7], -v[6:7], v[12:13], v[10:11]
	s_nop 1
	v_div_fmas_f64 v[6:7], v[6:7], v[8:9], v[12:13]
	v_div_fixup_f64 v[4:5], v[6:7], v[2:3], v[4:5]
.LBB7_196:
	s_or_b64 exec, exec, s[2:3]
	v_add_u32_e32 v22, 0x80, v22
	global_store_dwordx2 v0, v[4:5], s[24:25]
	s_or_b64 exec, exec, s[48:49]
	v_cmp_gt_i32_e32 vcc, s57, v22
	s_and_saveexec_b64 s[48:49], vcc
	s_cbranch_execnz .LBB7_165
.LBB7_197:
	s_or_b64 exec, exec, s[48:49]
	v_cmp_gt_i32_e32 vcc, s57, v22
	s_and_saveexec_b64 s[48:49], vcc
	s_cbranch_execnz .LBB7_225
.LBB7_198:
	s_or_b64 exec, exec, s[48:49]
                                        ; implicit-def: $vgpr9
                                        ; implicit-def: $vgpr22
	s_andn2_saveexec_b64 s[0:1], s[34:35]
	s_cbranch_execnz .LBB7_9
.LBB7_199:
	s_endpgm
.LBB7_200:
	s_mov_b32 s51, s50
	v_pk_mov_b32 v[0:1], s[50:51], s[50:51] op_sel:[0,1]
                                        ; implicit-def: $vgpr2
	v_mov_b32_e32 v3, v22
.LBB7_201:
	s_and_b32 s8, s59, 3
	s_cmp_eq_u32 s8, 0
	s_cbranch_scc1 .LBB7_205
; %bb.202:
	s_lshl_b32 s0, s50, 3
	s_add_u32 s0, s0, s4
	s_addc_u32 s1, s5, 0
	s_add_u32 s0, s0, 0xc4
	s_addc_u32 s1, s1, 0
	s_mul_i32 s2, s50, 12
	s_add_u32 s2, s4, s2
	s_addc_u32 s3, s5, 0
.LBB7_203:                              ; =>This Inner Loop Header: Depth=1
	s_load_dwordx2 s[10:11], s[2:3], 0x4
	s_load_dword s9, s[2:3], 0xc
	s_load_dwordx2 s[12:13], s[0:1], 0x0
	v_mov_b32_e32 v2, v1
	s_add_u32 s2, s2, 12
	s_waitcnt lgkmcnt(0)
	v_mul_hi_u32 v1, s11, v3
	v_add_u32_e32 v1, v3, v1
	v_lshrrev_b32_e32 v1, s9, v1
	s_addc_u32 s3, s3, 0
	v_mul_lo_u32 v4, v1, s10
	s_add_u32 s0, s0, 8
	v_sub_u32_e32 v6, v3, v4
	v_mov_b32_e32 v3, v1
	s_addc_u32 s1, s1, 0
	s_add_i32 s8, s8, -1
	v_mad_u64_u32 v[4:5], s[10:11], v6, s13, v[2:3]
	v_mad_u64_u32 v[0:1], s[10:11], v6, s12, v[0:1]
	s_cmp_lg_u32 s8, 0
	v_mov_b32_e32 v1, v4
	s_cbranch_scc1 .LBB7_203
; %bb.204:
	v_mov_b32_e32 v2, v1
.LBB7_205:
	s_cbranch_execnz .LBB7_208
.LBB7_206:
	s_waitcnt lgkmcnt(0)
	v_mul_hi_u32 v0, s37, v22
	v_add_u32_e32 v0, v22, v0
	v_lshrrev_b32_e32 v1, s38, v0
	v_mul_lo_u32 v0, v1, s36
	v_sub_u32_e32 v0, v22, v0
	v_mul_lo_u32 v2, v0, s29
	s_andn2_b64 vcc, exec, s[42:43]
	v_mul_lo_u32 v0, v0, s28
	s_cbranch_vccnz .LBB7_208
; %bb.207:
	v_mul_hi_u32 v3, s40, v1
	v_add_u32_e32 v3, v1, v3
	v_lshrrev_b32_e32 v3, s41, v3
	v_mul_lo_u32 v3, v3, s39
	v_sub_u32_e32 v3, v1, v3
	v_mad_u64_u32 v[0:1], s[0:1], v3, s30, v[0:1]
	v_mad_u64_u32 v[2:3], s[0:1], v3, s31, v[2:3]
.LBB7_208:
	s_waitcnt lgkmcnt(0)
	global_load_dwordx2 v[2:3], v2, s[26:27]
	s_mov_b32 s0, 0
	s_mov_b32 s1, 0x40140000
                                        ; implicit-def: $vgpr4_vgpr5
	s_waitcnt vmcnt(0)
	v_xor_b32_e32 v1, 0x80000000, v3
	v_cmp_gt_f64_e32 vcc, 0, v[2:3]
	v_cndmask_b32_e32 v3, v3, v1, vcc
	v_cndmask_b32_e32 v2, v2, v2, vcc
	v_cmp_ge_f64_e32 vcc, s[0:1], v[2:3]
	v_mul_f64 v[6:7], v[2:3], v[2:3]
	s_and_saveexec_b64 s[0:1], vcc
	s_xor_b64 s[0:1], exec, s[0:1]
	s_cbranch_execz .LBB7_214
; %bb.209:
	s_mov_b32 s2, 0x88e368f1
	s_mov_b32 s3, 0x3ee4f8b5
	v_cmp_ngt_f64_e32 vcc, s[2:3], v[2:3]
                                        ; implicit-def: $vgpr4_vgpr5
	s_and_saveexec_b64 s[2:3], vcc
	s_xor_b64 s[2:3], exec, s[2:3]
	s_cbranch_execz .LBB7_211
; %bb.210:
	v_mov_b32_e32 v2, 0xad1c8325
	v_mov_b32_e32 v3, 0xc1f1dc53
	v_fmac_f64_e32 v[2:3], 0, v[6:7]
	v_mov_b32_e32 v4, 0xc772990d
	v_mov_b32_e32 v5, 0x427c7751
	v_fmac_f64_e32 v[4:5], v[6:7], v[2:3]
	;; [unrolled: 3-line block ×10, first 2 shown]
	v_mov_b32_e32 v8, 0xc7b662cc
	v_mov_b32_e32 v9, 0x43b7be34
	s_mov_b32 s8, 0x80462bbb
	v_fmac_f64_e32 v[8:9], v[6:7], v[4:5]
	v_mov_b32_e32 v4, 0x69ff5fb4
	v_mov_b32_e32 v5, 0x43413ef8
	s_mov_b32 s9, 0xc01721fb
	v_fmac_f64_e32 v[4:5], v[6:7], v[2:3]
	v_add_f64 v[2:3], v[6:7], s[8:9]
	s_mov_b32 s8, 0xa621dd6f
	s_mov_b32 s9, 0xc03e78a4
	v_add_f64 v[6:7], v[6:7], s[8:9]
	v_mul_f64 v[2:3], v[2:3], v[6:7]
	v_mul_f64 v[2:3], v[2:3], v[4:5]
	v_div_scale_f64 v[4:5], s[8:9], v[8:9], v[8:9], v[2:3]
	v_rcp_f64_e32 v[6:7], v[4:5]
	v_fma_f64 v[10:11], -v[4:5], v[6:7], 1.0
	v_fmac_f64_e32 v[6:7], v[6:7], v[10:11]
	v_fma_f64 v[10:11], -v[4:5], v[6:7], 1.0
	v_fmac_f64_e32 v[6:7], v[6:7], v[10:11]
	v_div_scale_f64 v[10:11], vcc, v[2:3], v[8:9], v[2:3]
	v_mul_f64 v[12:13], v[10:11], v[6:7]
	v_fma_f64 v[4:5], -v[4:5], v[12:13], v[10:11]
	s_nop 1
	v_div_fmas_f64 v[4:5], v[4:5], v[6:7], v[12:13]
	v_div_fixup_f64 v[4:5], v[4:5], v[8:9], v[2:3]
                                        ; implicit-def: $vgpr6_vgpr7
.LBB7_211:
	s_andn2_saveexec_b64 s[2:3], s[2:3]
; %bb.212:
	s_mov_b32 s8, 0
	s_mov_b32 s9, 0xbfd00000
	v_fma_f64 v[4:5], v[6:7], s[8:9], 1.0
; %bb.213:
	s_or_b64 exec, exec, s[2:3]
                                        ; implicit-def: $vgpr6_vgpr7
                                        ; implicit-def: $vgpr2_vgpr3
.LBB7_214:
	s_andn2_saveexec_b64 s[2:3], s[0:1]
	s_cbranch_execz .LBB7_224
; %bb.215:
	s_mov_b32 s11, 0xbfe921fb
	s_mov_b32 s10, 0x54442d18
	;; [unrolled: 1-line block ×3, first 2 shown]
	v_add_f64 v[4:5], v[2:3], s[10:11]
	s_mov_b32 s1, 0x41d00000
	v_cmp_nlt_f64_e64 s[8:9], |v[4:5]|, s[0:1]
                                        ; implicit-def: $vgpr1
                                        ; implicit-def: $vgpr8_vgpr9
                                        ; implicit-def: $vgpr10_vgpr11
	s_and_saveexec_b64 s[0:1], s[8:9]
	s_xor_b64 s[12:13], exec, s[0:1]
	s_cbranch_execz .LBB7_217
; %bb.216:
	s_mov_b32 s0, 0
	s_mov_b32 s1, 0x7b000000
	s_movk_i32 s11, 0xff80
	v_and_b32_e32 v1, 0x7fffffff, v5
	v_ldexp_f64 v[12:13], |v[4:5]|, s11
	v_cmp_ge_f64_e64 vcc, |v[4:5]|, s[0:1]
	v_trig_preop_f64 v[8:9], |v[4:5]|, 0
	v_cndmask_b32_e32 v13, v1, v13, vcc
	v_cndmask_b32_e32 v12, v4, v12, vcc
	v_trig_preop_f64 v[10:11], |v[4:5]|, 1
	v_mul_f64 v[16:17], v[8:9], v[12:13]
	v_mul_f64 v[14:15], v[10:11], v[12:13]
	v_fma_f64 v[8:9], v[8:9], v[12:13], -v[16:17]
	v_add_f64 v[18:19], v[14:15], v[8:9]
	v_add_f64 v[20:21], v[16:17], v[18:19]
	s_mov_b32 s0, 0
	v_ldexp_f64 v[24:25], v[20:21], -2
	s_mov_b32 s1, 0x7ff00000
	v_fract_f64_e32 v[26:27], v[24:25]
	v_cmp_neq_f64_e64 vcc, |v[24:25]|, s[0:1]
	v_cndmask_b32_e32 v25, 0, v27, vcc
	v_cndmask_b32_e32 v24, 0, v26, vcc
	v_add_f64 v[26:27], v[18:19], -v[14:15]
	v_add_f64 v[8:9], v[8:9], -v[26:27]
	;; [unrolled: 1-line block ×4, first 2 shown]
	v_fma_f64 v[10:11], v[10:11], v[12:13], -v[14:15]
	v_trig_preop_f64 v[14:15], |v[4:5]|, 2
	v_add_f64 v[8:9], v[8:9], v[26:27]
	v_mul_f64 v[26:27], v[14:15], v[12:13]
	v_add_f64 v[30:31], v[26:27], v[10:11]
	v_add_f64 v[32:33], v[30:31], v[8:9]
	v_add_f64 v[16:17], v[20:21], -v[16:17]
	v_add_f64 v[20:21], v[32:33], -v[30:31]
	;; [unrolled: 1-line block ×5, first 2 shown]
	v_add_f64 v[8:9], v[8:9], v[20:21]
	v_add_f64 v[20:21], v[30:31], -v[26:27]
	v_add_f64 v[10:11], v[10:11], -v[20:21]
	;; [unrolled: 1-line block ×4, first 2 shown]
	v_add_f64 v[10:11], v[10:11], v[20:21]
	v_add_f64 v[16:17], v[18:19], -v[16:17]
	v_add_f64 v[8:9], v[10:11], v[8:9]
	v_fma_f64 v[10:11], v[14:15], v[12:13], -v[26:27]
	v_add_f64 v[18:19], v[16:17], v[32:33]
	v_add_f64 v[8:9], v[10:11], v[8:9]
	v_ldexp_f64 v[10:11], v[24:25], 2
	v_add_f64 v[12:13], v[18:19], v[10:11]
	v_mov_b32_e32 v1, 0x40100000
	v_cmp_gt_f64_e32 vcc, 0, v[12:13]
	v_mov_b32_e32 v28, 0
	v_cndmask_b32_e32 v29, 0, v1, vcc
	v_add_f64 v[10:11], v[10:11], v[28:29]
	v_add_f64 v[12:13], v[18:19], v[10:11]
	v_cvt_i32_f64_e32 v1, v[12:13]
	v_cvt_f64_i32_e32 v[12:13], v1
	v_add_f64 v[10:11], v[10:11], -v[12:13]
	v_add_f64 v[16:17], v[18:19], -v[16:17]
	v_add_f64 v[12:13], v[18:19], v[10:11]
	v_add_f64 v[16:17], v[32:33], -v[16:17]
	v_add_f64 v[10:11], v[12:13], -v[10:11]
	v_add_f64 v[8:9], v[16:17], v[8:9]
	v_add_f64 v[10:11], v[18:19], -v[10:11]
	v_add_f64 v[8:9], v[8:9], v[10:11]
	v_cmp_le_f64_e32 vcc, 0.5, v[12:13]
	v_mov_b32_e32 v10, 0x3ff00000
	v_cndmask_b32_e32 v29, 0, v10, vcc
	v_add_f64 v[10:11], v[12:13], -v[28:29]
	v_add_f64 v[12:13], v[10:11], v[8:9]
	v_addc_co_u32_e64 v1, s[0:1], 0, v1, vcc
	v_add_f64 v[10:11], v[12:13], -v[10:11]
	s_mov_b32 s11, 0x3ff921fb
	v_add_f64 v[8:9], v[8:9], -v[10:11]
	v_mul_f64 v[10:11], v[12:13], s[10:11]
	s_mov_b32 s0, 0x33145c07
	v_fma_f64 v[14:15], v[12:13], s[10:11], -v[10:11]
	s_mov_b32 s1, 0x3c91a626
	v_fmac_f64_e32 v[14:15], s[0:1], v[12:13]
	v_fmac_f64_e32 v[14:15], s[10:11], v[8:9]
	v_add_f64 v[8:9], v[10:11], v[14:15]
	v_add_f64 v[10:11], v[8:9], -v[10:11]
	v_add_f64 v[10:11], v[14:15], -v[10:11]
	s_andn2_saveexec_b64 s[0:1], s[12:13]
	s_cbranch_execz .LBB7_219
	s_branch .LBB7_218
.LBB7_217:
	s_andn2_saveexec_b64 s[0:1], s[12:13]
	s_cbranch_execz .LBB7_219
.LBB7_218:
	s_mov_b32 s10, 0x6dc9c883
	s_mov_b32 s11, 0x3fe45f30
	v_mul_f64 v[8:9], |v[4:5]|, s[10:11]
	s_mov_b32 s10, 0x54442d18
	v_rndne_f64_e32 v[12:13], v[8:9]
	s_mov_b32 s11, 0xbff921fb
	v_fma_f64 v[8:9], v[12:13], s[10:11], |v[4:5]|
	s_mov_b32 s11, 0xbc91a626
	s_mov_b32 s10, 0x33145c00
	v_mul_f64 v[14:15], v[12:13], s[10:11]
	v_add_f64 v[18:19], v[8:9], v[14:15]
	v_fma_f64 v[10:11], s[10:11], v[12:13], v[8:9]
	s_mov_b32 s11, 0x3c91a626
	v_add_f64 v[8:9], v[8:9], -v[18:19]
	v_fma_f64 v[16:17], s[10:11], v[12:13], v[14:15]
	v_add_f64 v[8:9], v[8:9], v[14:15]
	v_add_f64 v[14:15], v[18:19], -v[10:11]
	v_add_f64 v[8:9], v[14:15], v[8:9]
	s_mov_b32 s10, 0x252049c0
	v_add_f64 v[14:15], v[8:9], -v[16:17]
	s_mov_b32 s11, 0xb97b839a
	v_fmac_f64_e32 v[14:15], s[10:11], v[12:13]
	v_add_f64 v[8:9], v[10:11], v[14:15]
	v_add_f64 v[10:11], v[8:9], -v[10:11]
	v_add_f64 v[10:11], v[14:15], -v[10:11]
	v_cvt_i32_f64_e32 v1, v[12:13]
.LBB7_219:
	s_or_b64 exec, exec, s[0:1]
                                        ; implicit-def: $vgpr23
                                        ; implicit-def: $vgpr12_vgpr13
                                        ; implicit-def: $vgpr14_vgpr15
	s_and_saveexec_b64 s[0:1], s[8:9]
	s_xor_b64 s[8:9], exec, s[0:1]
	s_cbranch_execz .LBB7_221
; %bb.220:
	s_mov_b32 s0, 0
	s_mov_b32 s1, 0x7b000000
	s_movk_i32 s10, 0xff80
	v_and_b32_e32 v18, 0x7fffffff, v5
	v_ldexp_f64 v[16:17], |v[4:5]|, s10
	v_cmp_ge_f64_e64 vcc, |v[4:5]|, s[0:1]
	v_trig_preop_f64 v[12:13], |v[4:5]|, 0
	v_cndmask_b32_e32 v17, v18, v17, vcc
	v_cndmask_b32_e32 v16, v4, v16, vcc
	v_trig_preop_f64 v[14:15], |v[4:5]|, 1
	v_mul_f64 v[20:21], v[12:13], v[16:17]
	v_mul_f64 v[18:19], v[14:15], v[16:17]
	v_fma_f64 v[12:13], v[12:13], v[16:17], -v[20:21]
	v_add_f64 v[24:25], v[18:19], v[12:13]
	v_add_f64 v[26:27], v[20:21], v[24:25]
	s_mov_b32 s0, 0
	v_ldexp_f64 v[28:29], v[26:27], -2
	s_mov_b32 s1, 0x7ff00000
	v_fract_f64_e32 v[30:31], v[28:29]
	v_cmp_neq_f64_e64 vcc, |v[28:29]|, s[0:1]
	v_cndmask_b32_e32 v29, 0, v31, vcc
	v_cndmask_b32_e32 v28, 0, v30, vcc
	v_add_f64 v[30:31], v[24:25], -v[18:19]
	v_add_f64 v[12:13], v[12:13], -v[30:31]
	;; [unrolled: 1-line block ×4, first 2 shown]
	v_fma_f64 v[14:15], v[14:15], v[16:17], -v[18:19]
	v_trig_preop_f64 v[18:19], |v[4:5]|, 2
	v_add_f64 v[12:13], v[12:13], v[30:31]
	v_mul_f64 v[30:31], v[18:19], v[16:17]
	v_add_f64 v[34:35], v[30:31], v[14:15]
	v_add_f64 v[36:37], v[34:35], v[12:13]
	v_add_f64 v[20:21], v[26:27], -v[20:21]
	v_add_f64 v[26:27], v[36:37], -v[34:35]
	v_add_f64 v[12:13], v[12:13], -v[26:27]
	v_add_f64 v[26:27], v[36:37], -v[26:27]
	v_add_f64 v[26:27], v[34:35], -v[26:27]
	v_add_f64 v[12:13], v[12:13], v[26:27]
	v_add_f64 v[26:27], v[34:35], -v[30:31]
	v_add_f64 v[14:15], v[14:15], -v[26:27]
	;; [unrolled: 1-line block ×4, first 2 shown]
	v_add_f64 v[14:15], v[14:15], v[26:27]
	v_add_f64 v[20:21], v[24:25], -v[20:21]
	v_add_f64 v[12:13], v[14:15], v[12:13]
	v_fma_f64 v[14:15], v[18:19], v[16:17], -v[30:31]
	v_add_f64 v[24:25], v[20:21], v[36:37]
	v_add_f64 v[12:13], v[14:15], v[12:13]
	v_ldexp_f64 v[14:15], v[28:29], 2
	v_add_f64 v[16:17], v[24:25], v[14:15]
	v_mov_b32_e32 v18, 0x40100000
	v_cmp_gt_f64_e32 vcc, 0, v[16:17]
	v_mov_b32_e32 v32, 0
	v_cndmask_b32_e32 v33, 0, v18, vcc
	v_add_f64 v[14:15], v[14:15], v[32:33]
	v_add_f64 v[16:17], v[24:25], v[14:15]
	v_cvt_i32_f64_e32 v18, v[16:17]
	v_cvt_f64_i32_e32 v[16:17], v18
	v_add_f64 v[14:15], v[14:15], -v[16:17]
	v_add_f64 v[20:21], v[24:25], -v[20:21]
	v_add_f64 v[16:17], v[24:25], v[14:15]
	v_add_f64 v[20:21], v[36:37], -v[20:21]
	v_add_f64 v[14:15], v[16:17], -v[14:15]
	v_add_f64 v[12:13], v[20:21], v[12:13]
	v_add_f64 v[14:15], v[24:25], -v[14:15]
	v_add_f64 v[12:13], v[12:13], v[14:15]
	v_cmp_le_f64_e32 vcc, 0.5, v[16:17]
	v_mov_b32_e32 v14, 0x3ff00000
	v_cndmask_b32_e32 v33, 0, v14, vcc
	v_addc_co_u32_e64 v23, s[0:1], 0, v18, vcc
	v_add_f64 v[14:15], v[16:17], -v[32:33]
	v_add_f64 v[16:17], v[14:15], v[12:13]
	s_mov_b32 s0, 0x54442d18
	v_add_f64 v[14:15], v[16:17], -v[14:15]
	s_mov_b32 s1, 0x3ff921fb
	v_add_f64 v[12:13], v[12:13], -v[14:15]
	v_mul_f64 v[14:15], v[16:17], s[0:1]
	s_mov_b32 s10, 0x33145c07
	v_fma_f64 v[18:19], v[16:17], s[0:1], -v[14:15]
	s_mov_b32 s11, 0x3c91a626
	v_fmac_f64_e32 v[18:19], s[10:11], v[16:17]
	v_fmac_f64_e32 v[18:19], s[0:1], v[12:13]
	v_add_f64 v[12:13], v[14:15], v[18:19]
	v_add_f64 v[14:15], v[12:13], -v[14:15]
	v_add_f64 v[14:15], v[18:19], -v[14:15]
	s_andn2_saveexec_b64 s[0:1], s[8:9]
	s_cbranch_execnz .LBB7_222
	s_branch .LBB7_223
.LBB7_221:
	s_andn2_saveexec_b64 s[0:1], s[8:9]
	s_cbranch_execz .LBB7_223
.LBB7_222:
	s_mov_b32 s8, 0x6dc9c883
	s_mov_b32 s9, 0x3fe45f30
	v_mul_f64 v[12:13], |v[4:5]|, s[8:9]
	s_mov_b32 s8, 0x54442d18
	v_rndne_f64_e32 v[16:17], v[12:13]
	s_mov_b32 s9, 0xbff921fb
	v_fma_f64 v[12:13], v[16:17], s[8:9], |v[4:5]|
	s_mov_b32 s9, 0xbc91a626
	s_mov_b32 s8, 0x33145c00
	v_mul_f64 v[18:19], v[16:17], s[8:9]
	v_add_f64 v[24:25], v[12:13], v[18:19]
	v_fma_f64 v[14:15], s[8:9], v[16:17], v[12:13]
	s_mov_b32 s9, 0x3c91a626
	v_add_f64 v[12:13], v[12:13], -v[24:25]
	v_fma_f64 v[20:21], s[8:9], v[16:17], v[18:19]
	v_add_f64 v[12:13], v[12:13], v[18:19]
	v_add_f64 v[18:19], v[24:25], -v[14:15]
	v_add_f64 v[12:13], v[18:19], v[12:13]
	s_mov_b32 s8, 0x252049c0
	v_add_f64 v[18:19], v[12:13], -v[20:21]
	s_mov_b32 s9, 0xb97b839a
	v_fmac_f64_e32 v[18:19], s[8:9], v[16:17]
	v_add_f64 v[12:13], v[14:15], v[18:19]
	v_add_f64 v[14:15], v[12:13], -v[14:15]
	v_add_f64 v[14:15], v[18:19], -v[14:15]
	v_cvt_i32_f64_e32 v23, v[16:17]
.LBB7_223:
	s_or_b64 exec, exec, s[0:1]
	s_mov_b32 s0, 0
	s_mov_b32 s1, 0x40390000
	v_div_scale_f64 v[16:17], s[8:9], v[6:7], v[6:7], s[0:1]
	v_rcp_f64_e32 v[18:19], v[16:17]
	v_mov_b32_e32 v26, 0x55b218cd
	v_mov_b32_e32 v27, 0xc049b48c
	s_mov_b32 s8, 0x46cc5e42
	v_fma_f64 v[20:21], -v[16:17], v[18:19], 1.0
	v_fmac_f64_e32 v[18:19], v[18:19], v[20:21]
	v_fma_f64 v[20:21], -v[16:17], v[18:19], 1.0
	v_fmac_f64_e32 v[18:19], v[18:19], v[20:21]
	v_div_scale_f64 v[20:21], vcc, s[0:1], v[6:7], s[0:1]
	v_mul_f64 v[24:25], v[20:21], v[18:19]
	v_fma_f64 v[16:17], -v[16:17], v[24:25], v[20:21]
	v_mov_b32_e32 v20, 0xab5454e3
	s_nop 0
	v_div_fmas_f64 v[16:17], v[16:17], v[18:19], v[24:25]
	v_div_fixup_f64 v[16:17], v[16:17], v[6:7], s[0:1]
	v_mov_b32_e32 v6, 0x983b6b27
	v_mov_b32_e32 v7, 0x3f4a1d30
	v_fmac_f64_e32 v[6:7], 0, v[16:17]
	v_mov_b32_e32 v18, 0xb35dd1cf
	v_mov_b32_e32 v19, 0x3fb534b0
	v_fmac_f64_e32 v[18:19], v[16:17], v[6:7]
	;; [unrolled: 3-line block ×7, first 2 shown]
	v_mov_b32_e32 v21, 0x3fb5ebc5
	v_fmac_f64_e32 v[20:21], v[16:17], v[6:7]
	v_mov_b32_e32 v6, 0xc9b3069f
	v_mov_b32_e32 v7, 0x3ff40e72
	v_fmac_f64_e32 v[6:7], v[16:17], v[20:21]
	v_mov_b32_e32 v20, 0xe68162bb
	v_mov_b32_e32 v21, 0x4015e247
	v_fmac_f64_e32 v[20:21], v[16:17], v[6:7]
	v_mov_b32_e32 v6, 0xea1b21a1
	v_mov_b32_e32 v7, 0x40218618
	v_fmac_f64_e32 v[6:7], v[16:17], v[20:21]
	v_mov_b32_e32 v20, 0xed423a19
	v_mov_b32_e32 v21, 0x40153965
	v_fmac_f64_e32 v[20:21], v[16:17], v[6:7]
	v_mov_b32_e32 v6, 0x38a5384a
	v_mov_b32_e32 v7, 0xbf874742
	v_fmac_f64_e32 v[6:7], 0, v[16:17]
	v_mov_b32_e32 v24, 0x3a321174
	v_mov_b32_e32 v25, 0xbff4853b
	v_fmac_f64_e32 v[24:25], v[16:17], v[6:7]
	v_mov_b32_e32 v6, 0xf50e2c0c
	v_mov_b32_e32 v7, 0xc0338dcf
	v_fmac_f64_e32 v[6:7], v[16:17], v[24:25]
	v_mov_b32_e32 v24, 0x5a6de8c4
	v_mov_b32_e32 v25, 0xc0574d2f
	v_fmac_f64_e32 v[24:25], v[16:17], v[6:7]
	v_mov_b32_e32 v6, 0x20cae8ea
	v_mov_b32_e32 v7, 0xc06635cc
	v_fmac_f64_e32 v[6:7], v[16:17], v[24:25]
	v_mov_b32_e32 v24, 0xec17392d
	v_mov_b32_e32 v25, 0xc062627a
	v_fmac_f64_e32 v[24:25], v[16:17], v[6:7]
	v_fmac_f64_e32 v[26:27], v[16:17], v[24:25]
	v_mov_b32_e32 v6, 0xd1b9a1dd
	v_mov_b32_e32 v7, 0xc0183358
	;; [unrolled: 1-line block ×4, first 2 shown]
	v_fmac_f64_e32 v[6:7], v[16:17], v[26:27]
	v_fmac_f64_e32 v[24:25], 0, v[16:17]
	v_mov_b32_e32 v26, 0xb1759c7f
	v_mov_b32_e32 v27, 0x408ac370
	v_fmac_f64_e32 v[26:27], v[16:17], v[24:25]
	v_mov_b32_e32 v24, 0xbd748cb5
	v_mov_b32_e32 v25, 0x40ae54cd
	;; [unrolled: 3-line block ×5, first 2 shown]
	v_fma_f64 v[20:21], v[16:17], v[20:21], 1.0
	v_fmac_f64_e32 v[26:27], v[16:17], v[24:25]
	v_fma_f64 v[24:25], v[16:17], v[18:19], 1.0
	v_div_scale_f64 v[28:29], s[0:1], v[20:21], v[20:21], v[24:25]
	v_rcp_f64_e32 v[30:31], v[28:29]
	v_mov_b32_e32 v18, 0x6280a54
	v_mov_b32_e32 v19, 0x406e402f
	v_fmac_f64_e32 v[18:19], v[16:17], v[26:27]
	v_fma_f64 v[16:17], -v[28:29], v[30:31], 1.0
	v_fmac_f64_e32 v[30:31], v[30:31], v[16:17]
	v_fma_f64 v[16:17], -v[28:29], v[30:31], 1.0
	v_fmac_f64_e32 v[30:31], v[30:31], v[16:17]
	v_div_scale_f64 v[16:17], vcc, v[24:25], v[20:21], v[24:25]
	v_mul_f64 v[26:27], v[16:17], v[30:31]
	v_fma_f64 v[16:17], -v[28:29], v[26:27], v[16:17]
	s_mov_b32 s0, 0x9037ab78
	s_nop 0
	v_div_fmas_f64 v[16:17], v[16:17], v[30:31], v[26:27]
	v_div_fixup_f64 v[16:17], v[16:17], v[20:21], v[24:25]
	v_mul_f64 v[24:25], v[8:9], v[8:9]
	v_mul_f64 v[20:21], v[24:25], 0.5
	v_add_f64 v[26:27], -v[20:21], 1.0
	v_add_f64 v[28:29], -v[26:27], 1.0
	s_mov_b32 s1, 0x3e21eeb6
	v_add_f64 v[28:29], v[28:29], -v[20:21]
	s_mov_b32 s9, 0xbda907db
	v_pk_mov_b32 v[20:21], s[0:1], s[0:1] op_sel:[0,1]
	s_mov_b32 s10, 0xa17f65f6
	v_fma_f64 v[32:33], s[8:9], v[24:25], v[20:21]
	s_mov_b32 s11, 0xbe927e4f
	s_mov_b32 s12, 0x19f4ec90
	v_fma_f64 v[32:33], v[24:25], v[32:33], s[10:11]
	s_mov_b32 s13, 0x3efa01a0
	;; [unrolled: 3-line block ×4, first 2 shown]
	v_mul_f64 v[30:31], v[24:25], v[24:25]
	v_fma_f64 v[32:33], v[24:25], v[32:33], s[16:17]
	v_fma_f64 v[28:29], v[8:9], -v[10:11], v[28:29]
	s_mov_b32 s0, 0xb42fdfa7
	v_fmac_f64_e32 v[28:29], v[30:31], v[32:33]
	s_mov_b32 s1, 0xbe5ae600
	s_mov_b32 s18, 0xf9a43bb8
	v_add_f64 v[26:27], v[26:27], v[28:29]
	s_mov_b32 s19, 0x3de5e0b2
	v_pk_mov_b32 v[28:29], s[0:1], s[0:1] op_sel:[0,1]
	s_mov_b32 s20, 0x796cde01
	v_fma_f64 v[30:31], s[18:19], v[24:25], v[28:29]
	s_mov_b32 s21, 0x3ec71de3
	s_mov_b32 s22, 0x19e83e5c
	v_fma_f64 v[30:31], v[24:25], v[30:31], s[20:21]
	s_mov_b32 s23, 0xbf2a01a0
	;; [unrolled: 3-line block ×3, first 2 shown]
	v_fma_f64 v[30:31], v[24:25], v[30:31], s[50:51]
	v_mul_f64 v[32:33], v[8:9], -v[24:25]
	v_mul_f64 v[34:35], v[10:11], 0.5
	v_fmac_f64_e32 v[34:35], v[32:33], v[30:31]
	v_fma_f64 v[10:11], v[24:25], v[34:35], -v[10:11]
	s_mov_b32 s53, 0xbfc55555
	s_mov_b32 s52, s16
	v_fmac_f64_e32 v[10:11], s[52:53], v[32:33]
	v_add_f64 v[8:9], v[8:9], -v[10:11]
	v_and_b32_e32 v10, 1, v1
	v_xor_b32_e32 v9, 0x80000000, v9
	v_cmp_eq_u32_e32 vcc, 0, v10
	v_lshlrev_b32_e32 v1, 30, v1
	s_mov_b32 s54, 0
	v_cndmask_b32_e32 v24, v8, v26, vcc
	v_cndmask_b32_e32 v8, v9, v27, vcc
	v_and_b32_e32 v1, 0x80000000, v1
	s_mov_b32 s55, 0xc0140000
	v_xor_b32_e32 v1, v8, v1
	v_div_scale_f64 v[8:9], s[0:1], v[2:3], v[2:3], s[54:55]
	v_rcp_f64_e32 v[10:11], v[8:9]
	s_movk_i32 s59, 0x1f8
	v_cmp_class_f64_e64 s[0:1], v[4:5], s59
	v_mov_b32_e32 v34, 0x7ff80000
	v_fma_f64 v[26:27], -v[8:9], v[10:11], 1.0
	v_fmac_f64_e32 v[10:11], v[10:11], v[26:27]
	v_fma_f64 v[26:27], -v[8:9], v[10:11], 1.0
	v_fmac_f64_e32 v[10:11], v[10:11], v[26:27]
	v_div_scale_f64 v[26:27], vcc, s[54:55], v[2:3], s[54:55]
	v_mul_f64 v[30:31], v[26:27], v[10:11]
	v_fma_f64 v[8:9], -v[8:9], v[30:31], v[26:27]
	v_div_scale_f64 v[26:27], s[60:61], v[18:19], v[18:19], v[6:7]
	v_rcp_f64_e32 v[32:33], v[26:27]
	v_div_fmas_f64 v[8:9], v[8:9], v[10:11], v[30:31]
	v_div_fixup_f64 v[8:9], v[8:9], v[2:3], s[54:55]
	v_cndmask_b32_e64 v25, v34, v1, s[0:1]
	v_fma_f64 v[10:11], -v[26:27], v[32:33], 1.0
	v_fmac_f64_e32 v[32:33], v[32:33], v[10:11]
	v_fma_f64 v[10:11], -v[26:27], v[32:33], 1.0
	v_fmac_f64_e32 v[32:33], v[32:33], v[10:11]
	v_div_scale_f64 v[10:11], vcc, v[6:7], v[18:19], v[6:7]
	v_mul_f64 v[30:31], v[10:11], v[32:33]
	v_fma_f64 v[10:11], -v[26:27], v[30:31], v[10:11]
	v_and_b32_e32 v1, 1, v23
	s_nop 0
	v_div_fmas_f64 v[10:11], v[10:11], v[32:33], v[30:31]
	v_div_fixup_f64 v[6:7], v[10:11], v[18:19], v[6:7]
	v_mul_f64 v[6:7], v[8:9], v[6:7]
	v_mul_f64 v[8:9], v[12:13], v[12:13]
	v_mul_f64 v[10:11], v[8:9], 0.5
	v_fmac_f64_e32 v[20:21], s[8:9], v[8:9]
	v_add_f64 v[18:19], -v[10:11], 1.0
	v_fma_f64 v[20:21], v[8:9], v[20:21], s[10:11]
	v_add_f64 v[26:27], -v[18:19], 1.0
	v_fma_f64 v[20:21], v[8:9], v[20:21], s[12:13]
	v_add_f64 v[10:11], v[26:27], -v[10:11]
	v_fma_f64 v[20:21], v[8:9], v[20:21], s[14:15]
	v_mul_f64 v[26:27], v[8:9], v[8:9]
	v_fma_f64 v[20:21], v[8:9], v[20:21], s[16:17]
	v_fma_f64 v[10:11], v[12:13], -v[14:15], v[10:11]
	v_fmac_f64_e32 v[10:11], v[26:27], v[20:21]
	v_fmac_f64_e32 v[28:29], s[18:19], v[8:9]
	v_add_f64 v[10:11], v[18:19], v[10:11]
	v_fma_f64 v[18:19], v[8:9], v[28:29], s[20:21]
	v_fma_f64 v[18:19], v[8:9], v[18:19], s[22:23]
	;; [unrolled: 1-line block ×3, first 2 shown]
	v_mul_f64 v[20:21], v[12:13], -v[8:9]
	v_mul_f64 v[26:27], v[14:15], 0.5
	v_fmac_f64_e32 v[26:27], v[20:21], v[18:19]
	v_fma_f64 v[8:9], v[8:9], v[26:27], -v[14:15]
	v_fmac_f64_e32 v[8:9], s[52:53], v[20:21]
	v_add_f64 v[8:9], v[12:13], -v[8:9]
	v_cmp_eq_u32_e32 vcc, 0, v1
	v_cndmask_b32_e32 v1, v10, v8, vcc
	v_lshlrev_b32_e32 v8, 30, v23
	v_xor_b32_e32 v5, v8, v5
	v_cndmask_b32_e32 v4, v11, v9, vcc
	v_and_b32_e32 v5, 0x80000000, v5
	v_xor_b32_e32 v5, v4, v5
	v_cndmask_b32_e64 v24, 0, v24, s[0:1]
	v_cndmask_b32_e64 v4, 0, v1, s[0:1]
	;; [unrolled: 1-line block ×3, first 2 shown]
	s_mov_b32 s0, 0
	s_brev_b32 s1, 8
	v_cmp_gt_f64_e32 vcc, s[0:1], v[2:3]
	v_cndmask_b32_e64 v1, 0, 1, vcc
	v_lshlrev_b32_e32 v1, 8, v1
	v_ldexp_f64 v[2:3], v[2:3], v1
	v_mul_f64 v[4:5], v[6:7], v[4:5]
	v_rsq_f64_e32 v[6:7], v[2:3]
	v_mov_b32_e32 v1, 0xffffff80
	v_cndmask_b32_e32 v1, 0, v1, vcc
	s_mov_b32 s0, 0x33d43651
	v_mul_f64 v[8:9], v[2:3], v[6:7]
	v_mul_f64 v[6:7], v[6:7], 0.5
	v_fma_f64 v[10:11], -v[6:7], v[8:9], 0.5
	v_fmac_f64_e32 v[8:9], v[8:9], v[10:11]
	v_fma_f64 v[12:13], -v[8:9], v[8:9], v[2:3]
	v_fmac_f64_e32 v[6:7], v[6:7], v[10:11]
	v_fmac_f64_e32 v[8:9], v[12:13], v[6:7]
	v_fma_f64 v[10:11], -v[8:9], v[8:9], v[2:3]
	v_fmac_f64_e32 v[8:9], v[10:11], v[6:7]
	v_ldexp_f64 v[6:7], v[8:9], v1
	v_mov_b32_e32 v1, 0x260
	v_fmac_f64_e32 v[4:5], v[16:17], v[24:25]
	s_mov_b32 s1, 0x3fe98845
	v_cmp_class_f64_e32 vcc, v[2:3], v1
	v_mul_f64 v[4:5], v[4:5], s[0:1]
	v_cndmask_b32_e32 v3, v7, v3, vcc
	v_cndmask_b32_e32 v2, v6, v2, vcc
	v_div_scale_f64 v[6:7], s[0:1], v[2:3], v[2:3], v[4:5]
	v_rcp_f64_e32 v[8:9], v[6:7]
	v_fma_f64 v[10:11], -v[6:7], v[8:9], 1.0
	v_fmac_f64_e32 v[8:9], v[8:9], v[10:11]
	v_fma_f64 v[10:11], -v[6:7], v[8:9], 1.0
	v_fmac_f64_e32 v[8:9], v[8:9], v[10:11]
	v_div_scale_f64 v[10:11], vcc, v[4:5], v[2:3], v[4:5]
	v_mul_f64 v[12:13], v[10:11], v[8:9]
	v_fma_f64 v[6:7], -v[6:7], v[12:13], v[10:11]
	s_nop 1
	v_div_fmas_f64 v[6:7], v[6:7], v[8:9], v[12:13]
	v_div_fixup_f64 v[4:5], v[6:7], v[2:3], v[4:5]
.LBB7_224:
	s_or_b64 exec, exec, s[2:3]
	v_add_u32_e32 v22, 0x80, v22
	global_store_dwordx2 v0, v[4:5], s[24:25]
	s_or_b64 exec, exec, s[48:49]
	v_cmp_gt_i32_e32 vcc, s57, v22
	s_and_saveexec_b64 s[48:49], vcc
	s_cbranch_execz .LBB7_198
.LBB7_225:
	s_andn2_b64 vcc, exec, s[6:7]
	s_cbranch_vccnz .LBB7_231
; %bb.226:
	s_mov_b32 s50, 0
	s_andn2_b64 vcc, exec, s[46:47]
	v_mov_b32_e32 v2, 0
	v_mov_b32_e32 v0, 0
	s_cbranch_vccnz .LBB7_237
; %bb.227:
	s_add_i32 s58, s58, 1
	s_cmp_eq_u32 s56, 2
	s_cbranch_scc1 .LBB7_232
; %bb.228:
	s_and_b32 s50, s58, 28
	s_mov_b32 s51, 0
	v_mov_b32_e32 v0, 0
	s_mov_b64 s[46:47], s[4:5]
	v_mov_b32_e32 v3, v22
	v_mov_b32_e32 v2, 0
.LBB7_229:                              ; =>This Inner Loop Header: Depth=1
	s_load_dwordx8 s[16:23], s[46:47], 0x4
	s_load_dwordx4 s[0:3], s[46:47], 0x24
	s_load_dwordx8 s[8:15], s[44:45], 0x0
	s_add_u32 s46, s46, 48
	s_addc_u32 s47, s47, 0
	s_waitcnt lgkmcnt(0)
	v_mul_hi_u32 v1, s17, v3
	v_add_u32_e32 v1, v3, v1
	v_lshrrev_b32_e32 v1, s18, v1
	v_mul_lo_u32 v4, v1, s16
	v_mul_hi_u32 v5, s20, v1
	v_sub_u32_e32 v3, v3, v4
	v_add_u32_e32 v4, v1, v5
	v_lshrrev_b32_e32 v4, s21, v4
	v_mul_lo_u32 v6, v4, s19
	v_mul_hi_u32 v7, s23, v4
	v_sub_u32_e32 v1, v1, v6
	v_add_u32_e32 v6, v4, v7
	v_mul_lo_u32 v5, v3, s9
	v_mul_lo_u32 v3, v3, s8
	;; [unrolled: 1-line block ×4, first 2 shown]
	v_lshrrev_b32_e32 v6, s0, v6
	v_add3_u32 v0, v3, v0, v1
	v_mul_hi_u32 v3, s2, v6
	v_add_u32_e32 v3, v6, v3
	v_lshrrev_b32_e32 v3, s3, v3
	s_add_i32 s51, s51, 4
	v_add3_u32 v1, v5, v2, v7
	v_mul_lo_u32 v2, v6, s22
	v_mul_lo_u32 v5, v3, s1
	s_add_u32 s44, s44, 32
	v_sub_u32_e32 v2, v4, v2
	v_sub_u32_e32 v5, v6, v5
	s_addc_u32 s45, s45, 0
	v_mul_lo_u32 v4, v2, s12
	v_mul_lo_u32 v2, v2, s13
	;; [unrolled: 1-line block ×4, first 2 shown]
	s_cmp_eq_u32 s50, s51
	v_add3_u32 v2, v2, v1, v5
	v_add3_u32 v0, v4, v0, v6
	s_cbranch_scc0 .LBB7_229
; %bb.230:
	v_mov_b32_e32 v1, v2
	s_branch .LBB7_233
.LBB7_231:
                                        ; implicit-def: $vgpr2
                                        ; implicit-def: $vgpr0
	s_branch .LBB7_238
.LBB7_232:
	s_mov_b32 s51, s50
	v_pk_mov_b32 v[0:1], s[50:51], s[50:51] op_sel:[0,1]
                                        ; implicit-def: $vgpr2
	v_mov_b32_e32 v3, v22
.LBB7_233:
	s_and_b32 s8, s58, 3
	s_cmp_eq_u32 s8, 0
	s_cbranch_scc1 .LBB7_237
; %bb.234:
	s_lshl_b32 s0, s50, 3
	s_add_u32 s0, s0, s4
	s_addc_u32 s1, s5, 0
	s_add_u32 s0, s0, 0xc4
	s_addc_u32 s1, s1, 0
	s_mul_i32 s2, s50, 12
	s_add_u32 s2, s4, s2
	s_addc_u32 s3, s5, 0
.LBB7_235:                              ; =>This Inner Loop Header: Depth=1
	s_load_dwordx2 s[10:11], s[2:3], 0x4
	s_load_dword s9, s[2:3], 0xc
	s_load_dwordx2 s[12:13], s[0:1], 0x0
	v_mov_b32_e32 v2, v1
	s_add_u32 s2, s2, 12
	s_waitcnt lgkmcnt(0)
	v_mul_hi_u32 v1, s11, v3
	v_add_u32_e32 v1, v3, v1
	v_lshrrev_b32_e32 v1, s9, v1
	s_addc_u32 s3, s3, 0
	v_mul_lo_u32 v4, v1, s10
	s_add_u32 s0, s0, 8
	v_sub_u32_e32 v6, v3, v4
	v_mov_b32_e32 v3, v1
	s_addc_u32 s1, s1, 0
	s_add_i32 s8, s8, -1
	v_mad_u64_u32 v[4:5], s[10:11], v6, s13, v[2:3]
	v_mad_u64_u32 v[0:1], s[10:11], v6, s12, v[0:1]
	s_cmp_lg_u32 s8, 0
	v_mov_b32_e32 v1, v4
	s_cbranch_scc1 .LBB7_235
; %bb.236:
	v_mov_b32_e32 v2, v1
.LBB7_237:
	s_cbranch_execnz .LBB7_240
.LBB7_238:
	s_waitcnt lgkmcnt(0)
	v_mul_hi_u32 v0, s37, v22
	v_add_u32_e32 v0, v22, v0
	v_lshrrev_b32_e32 v1, s38, v0
	v_mul_lo_u32 v0, v1, s36
	v_sub_u32_e32 v0, v22, v0
	v_mul_lo_u32 v2, v0, s29
	s_andn2_b64 vcc, exec, s[42:43]
	v_mul_lo_u32 v0, v0, s28
	s_cbranch_vccnz .LBB7_240
; %bb.239:
	v_mul_hi_u32 v3, s40, v1
	v_add_u32_e32 v3, v1, v3
	v_lshrrev_b32_e32 v3, s41, v3
	v_mul_lo_u32 v3, v3, s39
	v_sub_u32_e32 v3, v1, v3
	v_mad_u64_u32 v[0:1], s[0:1], v3, s30, v[0:1]
	v_mad_u64_u32 v[2:3], s[0:1], v3, s31, v[2:3]
.LBB7_240:
	s_waitcnt lgkmcnt(0)
	global_load_dwordx2 v[2:3], v2, s[26:27]
	s_mov_b32 s0, 0
	s_mov_b32 s1, 0x40140000
                                        ; implicit-def: $vgpr4_vgpr5
	s_waitcnt vmcnt(0)
	v_xor_b32_e32 v1, 0x80000000, v3
	v_cmp_gt_f64_e32 vcc, 0, v[2:3]
	v_cndmask_b32_e32 v3, v3, v1, vcc
	v_cndmask_b32_e32 v2, v2, v2, vcc
	v_cmp_ge_f64_e32 vcc, s[0:1], v[2:3]
	v_mul_f64 v[6:7], v[2:3], v[2:3]
	s_and_saveexec_b64 s[0:1], vcc
	s_xor_b64 s[0:1], exec, s[0:1]
	s_cbranch_execz .LBB7_246
; %bb.241:
	s_mov_b32 s2, 0x88e368f1
	s_mov_b32 s3, 0x3ee4f8b5
	v_cmp_ngt_f64_e32 vcc, s[2:3], v[2:3]
                                        ; implicit-def: $vgpr4_vgpr5
	s_and_saveexec_b64 s[2:3], vcc
	s_xor_b64 s[2:3], exec, s[2:3]
	s_cbranch_execz .LBB7_243
; %bb.242:
	v_mov_b32_e32 v2, 0xad1c8325
	v_mov_b32_e32 v3, 0xc1f1dc53
	v_fmac_f64_e32 v[2:3], 0, v[6:7]
	v_mov_b32_e32 v4, 0xc772990d
	v_mov_b32_e32 v5, 0x427c7751
	v_fmac_f64_e32 v[4:5], v[6:7], v[2:3]
	;; [unrolled: 3-line block ×10, first 2 shown]
	v_mov_b32_e32 v8, 0xc7b662cc
	v_mov_b32_e32 v9, 0x43b7be34
	s_mov_b32 s8, 0x80462bbb
	v_fmac_f64_e32 v[8:9], v[6:7], v[4:5]
	v_mov_b32_e32 v4, 0x69ff5fb4
	v_mov_b32_e32 v5, 0x43413ef8
	s_mov_b32 s9, 0xc01721fb
	v_fmac_f64_e32 v[4:5], v[6:7], v[2:3]
	v_add_f64 v[2:3], v[6:7], s[8:9]
	s_mov_b32 s8, 0xa621dd6f
	s_mov_b32 s9, 0xc03e78a4
	v_add_f64 v[6:7], v[6:7], s[8:9]
	v_mul_f64 v[2:3], v[2:3], v[6:7]
	v_mul_f64 v[2:3], v[2:3], v[4:5]
	v_div_scale_f64 v[4:5], s[8:9], v[8:9], v[8:9], v[2:3]
	v_rcp_f64_e32 v[6:7], v[4:5]
	v_fma_f64 v[10:11], -v[4:5], v[6:7], 1.0
	v_fmac_f64_e32 v[6:7], v[6:7], v[10:11]
	v_fma_f64 v[10:11], -v[4:5], v[6:7], 1.0
	v_fmac_f64_e32 v[6:7], v[6:7], v[10:11]
	v_div_scale_f64 v[10:11], vcc, v[2:3], v[8:9], v[2:3]
	v_mul_f64 v[12:13], v[10:11], v[6:7]
	v_fma_f64 v[4:5], -v[4:5], v[12:13], v[10:11]
	s_nop 1
	v_div_fmas_f64 v[4:5], v[4:5], v[6:7], v[12:13]
	v_div_fixup_f64 v[4:5], v[4:5], v[8:9], v[2:3]
                                        ; implicit-def: $vgpr6_vgpr7
.LBB7_243:
	s_andn2_saveexec_b64 s[2:3], s[2:3]
; %bb.244:
	s_mov_b32 s8, 0
	s_mov_b32 s9, 0xbfd00000
	v_fma_f64 v[4:5], v[6:7], s[8:9], 1.0
; %bb.245:
	s_or_b64 exec, exec, s[2:3]
                                        ; implicit-def: $vgpr6_vgpr7
                                        ; implicit-def: $vgpr2_vgpr3
.LBB7_246:
	s_andn2_saveexec_b64 s[2:3], s[0:1]
	s_cbranch_execz .LBB7_256
; %bb.247:
	s_mov_b32 s11, 0xbfe921fb
	s_mov_b32 s10, 0x54442d18
	;; [unrolled: 1-line block ×3, first 2 shown]
	v_add_f64 v[4:5], v[2:3], s[10:11]
	s_mov_b32 s1, 0x41d00000
	v_cmp_nlt_f64_e64 s[8:9], |v[4:5]|, s[0:1]
                                        ; implicit-def: $vgpr1
                                        ; implicit-def: $vgpr8_vgpr9
                                        ; implicit-def: $vgpr10_vgpr11
	s_and_saveexec_b64 s[0:1], s[8:9]
	s_xor_b64 s[12:13], exec, s[0:1]
	s_cbranch_execz .LBB7_249
; %bb.248:
	s_mov_b32 s0, 0
	s_mov_b32 s1, 0x7b000000
	s_movk_i32 s11, 0xff80
	v_and_b32_e32 v1, 0x7fffffff, v5
	v_ldexp_f64 v[12:13], |v[4:5]|, s11
	v_cmp_ge_f64_e64 vcc, |v[4:5]|, s[0:1]
	v_trig_preop_f64 v[8:9], |v[4:5]|, 0
	v_cndmask_b32_e32 v13, v1, v13, vcc
	v_cndmask_b32_e32 v12, v4, v12, vcc
	v_trig_preop_f64 v[10:11], |v[4:5]|, 1
	v_mul_f64 v[16:17], v[8:9], v[12:13]
	v_mul_f64 v[14:15], v[10:11], v[12:13]
	v_fma_f64 v[8:9], v[8:9], v[12:13], -v[16:17]
	v_add_f64 v[18:19], v[14:15], v[8:9]
	v_add_f64 v[20:21], v[16:17], v[18:19]
	s_mov_b32 s0, 0
	v_ldexp_f64 v[22:23], v[20:21], -2
	s_mov_b32 s1, 0x7ff00000
	v_fract_f64_e32 v[24:25], v[22:23]
	v_cmp_neq_f64_e64 vcc, |v[22:23]|, s[0:1]
	v_cndmask_b32_e32 v23, 0, v25, vcc
	v_cndmask_b32_e32 v22, 0, v24, vcc
	v_add_f64 v[24:25], v[18:19], -v[14:15]
	v_add_f64 v[8:9], v[8:9], -v[24:25]
	;; [unrolled: 1-line block ×4, first 2 shown]
	v_fma_f64 v[10:11], v[10:11], v[12:13], -v[14:15]
	v_trig_preop_f64 v[14:15], |v[4:5]|, 2
	v_add_f64 v[8:9], v[8:9], v[24:25]
	v_mul_f64 v[24:25], v[14:15], v[12:13]
	v_add_f64 v[28:29], v[24:25], v[10:11]
	v_add_f64 v[30:31], v[28:29], v[8:9]
	v_add_f64 v[16:17], v[20:21], -v[16:17]
	v_add_f64 v[20:21], v[30:31], -v[28:29]
	;; [unrolled: 1-line block ×5, first 2 shown]
	v_add_f64 v[8:9], v[8:9], v[20:21]
	v_add_f64 v[20:21], v[28:29], -v[24:25]
	v_add_f64 v[10:11], v[10:11], -v[20:21]
	;; [unrolled: 1-line block ×4, first 2 shown]
	v_add_f64 v[10:11], v[10:11], v[20:21]
	v_add_f64 v[16:17], v[18:19], -v[16:17]
	v_add_f64 v[8:9], v[10:11], v[8:9]
	v_fma_f64 v[10:11], v[14:15], v[12:13], -v[24:25]
	v_add_f64 v[18:19], v[16:17], v[30:31]
	v_add_f64 v[8:9], v[10:11], v[8:9]
	v_ldexp_f64 v[10:11], v[22:23], 2
	v_add_f64 v[12:13], v[18:19], v[10:11]
	v_mov_b32_e32 v1, 0x40100000
	v_cmp_gt_f64_e32 vcc, 0, v[12:13]
	v_mov_b32_e32 v26, 0
	v_cndmask_b32_e32 v27, 0, v1, vcc
	v_add_f64 v[10:11], v[10:11], v[26:27]
	v_add_f64 v[12:13], v[18:19], v[10:11]
	v_cvt_i32_f64_e32 v1, v[12:13]
	v_cvt_f64_i32_e32 v[12:13], v1
	v_add_f64 v[10:11], v[10:11], -v[12:13]
	v_add_f64 v[16:17], v[18:19], -v[16:17]
	v_add_f64 v[12:13], v[18:19], v[10:11]
	v_add_f64 v[16:17], v[30:31], -v[16:17]
	v_add_f64 v[10:11], v[12:13], -v[10:11]
	v_add_f64 v[8:9], v[16:17], v[8:9]
	v_add_f64 v[10:11], v[18:19], -v[10:11]
	v_add_f64 v[8:9], v[8:9], v[10:11]
	v_cmp_le_f64_e32 vcc, 0.5, v[12:13]
	v_mov_b32_e32 v10, 0x3ff00000
	v_cndmask_b32_e32 v27, 0, v10, vcc
	v_add_f64 v[10:11], v[12:13], -v[26:27]
	v_add_f64 v[12:13], v[10:11], v[8:9]
	v_addc_co_u32_e64 v1, s[0:1], 0, v1, vcc
	v_add_f64 v[10:11], v[12:13], -v[10:11]
	s_mov_b32 s11, 0x3ff921fb
	v_add_f64 v[8:9], v[8:9], -v[10:11]
	v_mul_f64 v[10:11], v[12:13], s[10:11]
	s_mov_b32 s0, 0x33145c07
	v_fma_f64 v[14:15], v[12:13], s[10:11], -v[10:11]
	s_mov_b32 s1, 0x3c91a626
	v_fmac_f64_e32 v[14:15], s[0:1], v[12:13]
	v_fmac_f64_e32 v[14:15], s[10:11], v[8:9]
	v_add_f64 v[8:9], v[10:11], v[14:15]
	v_add_f64 v[10:11], v[8:9], -v[10:11]
	v_add_f64 v[10:11], v[14:15], -v[10:11]
	s_andn2_saveexec_b64 s[0:1], s[12:13]
	s_cbranch_execz .LBB7_251
	s_branch .LBB7_250
.LBB7_249:
	s_andn2_saveexec_b64 s[0:1], s[12:13]
	s_cbranch_execz .LBB7_251
.LBB7_250:
	s_mov_b32 s10, 0x6dc9c883
	s_mov_b32 s11, 0x3fe45f30
	v_mul_f64 v[8:9], |v[4:5]|, s[10:11]
	s_mov_b32 s10, 0x54442d18
	v_rndne_f64_e32 v[12:13], v[8:9]
	s_mov_b32 s11, 0xbff921fb
	v_fma_f64 v[8:9], v[12:13], s[10:11], |v[4:5]|
	s_mov_b32 s11, 0xbc91a626
	s_mov_b32 s10, 0x33145c00
	v_mul_f64 v[14:15], v[12:13], s[10:11]
	v_add_f64 v[18:19], v[8:9], v[14:15]
	v_fma_f64 v[10:11], s[10:11], v[12:13], v[8:9]
	s_mov_b32 s11, 0x3c91a626
	v_add_f64 v[8:9], v[8:9], -v[18:19]
	v_fma_f64 v[16:17], s[10:11], v[12:13], v[14:15]
	v_add_f64 v[8:9], v[8:9], v[14:15]
	v_add_f64 v[14:15], v[18:19], -v[10:11]
	v_add_f64 v[8:9], v[14:15], v[8:9]
	s_mov_b32 s10, 0x252049c0
	v_add_f64 v[14:15], v[8:9], -v[16:17]
	s_mov_b32 s11, 0xb97b839a
	v_fmac_f64_e32 v[14:15], s[10:11], v[12:13]
	v_add_f64 v[8:9], v[10:11], v[14:15]
	v_add_f64 v[10:11], v[8:9], -v[10:11]
	v_add_f64 v[10:11], v[14:15], -v[10:11]
	v_cvt_i32_f64_e32 v1, v[12:13]
.LBB7_251:
	s_or_b64 exec, exec, s[0:1]
                                        ; implicit-def: $vgpr22
                                        ; implicit-def: $vgpr12_vgpr13
                                        ; implicit-def: $vgpr14_vgpr15
	s_and_saveexec_b64 s[0:1], s[8:9]
	s_xor_b64 s[8:9], exec, s[0:1]
	s_cbranch_execz .LBB7_253
; %bb.252:
	s_mov_b32 s0, 0
	s_mov_b32 s1, 0x7b000000
	s_movk_i32 s10, 0xff80
	v_and_b32_e32 v18, 0x7fffffff, v5
	v_ldexp_f64 v[16:17], |v[4:5]|, s10
	v_cmp_ge_f64_e64 vcc, |v[4:5]|, s[0:1]
	v_trig_preop_f64 v[12:13], |v[4:5]|, 0
	v_cndmask_b32_e32 v17, v18, v17, vcc
	v_cndmask_b32_e32 v16, v4, v16, vcc
	v_trig_preop_f64 v[14:15], |v[4:5]|, 1
	v_mul_f64 v[20:21], v[12:13], v[16:17]
	v_mul_f64 v[18:19], v[14:15], v[16:17]
	v_fma_f64 v[12:13], v[12:13], v[16:17], -v[20:21]
	v_add_f64 v[22:23], v[18:19], v[12:13]
	v_add_f64 v[24:25], v[20:21], v[22:23]
	s_mov_b32 s0, 0
	v_ldexp_f64 v[26:27], v[24:25], -2
	s_mov_b32 s1, 0x7ff00000
	v_fract_f64_e32 v[28:29], v[26:27]
	v_cmp_neq_f64_e64 vcc, |v[26:27]|, s[0:1]
	v_cndmask_b32_e32 v27, 0, v29, vcc
	v_cndmask_b32_e32 v26, 0, v28, vcc
	v_add_f64 v[28:29], v[22:23], -v[18:19]
	v_add_f64 v[12:13], v[12:13], -v[28:29]
	;; [unrolled: 1-line block ×4, first 2 shown]
	v_fma_f64 v[14:15], v[14:15], v[16:17], -v[18:19]
	v_trig_preop_f64 v[18:19], |v[4:5]|, 2
	v_add_f64 v[12:13], v[12:13], v[28:29]
	v_mul_f64 v[28:29], v[18:19], v[16:17]
	v_add_f64 v[32:33], v[28:29], v[14:15]
	v_add_f64 v[34:35], v[32:33], v[12:13]
	v_add_f64 v[20:21], v[24:25], -v[20:21]
	v_add_f64 v[24:25], v[34:35], -v[32:33]
	;; [unrolled: 1-line block ×5, first 2 shown]
	v_add_f64 v[12:13], v[12:13], v[24:25]
	v_add_f64 v[24:25], v[32:33], -v[28:29]
	v_add_f64 v[14:15], v[14:15], -v[24:25]
	;; [unrolled: 1-line block ×4, first 2 shown]
	v_add_f64 v[14:15], v[14:15], v[24:25]
	v_add_f64 v[20:21], v[22:23], -v[20:21]
	v_add_f64 v[12:13], v[14:15], v[12:13]
	v_fma_f64 v[14:15], v[18:19], v[16:17], -v[28:29]
	v_add_f64 v[22:23], v[20:21], v[34:35]
	v_add_f64 v[12:13], v[14:15], v[12:13]
	v_ldexp_f64 v[14:15], v[26:27], 2
	v_add_f64 v[16:17], v[22:23], v[14:15]
	v_mov_b32_e32 v18, 0x40100000
	v_cmp_gt_f64_e32 vcc, 0, v[16:17]
	v_mov_b32_e32 v30, 0
	v_cndmask_b32_e32 v31, 0, v18, vcc
	v_add_f64 v[14:15], v[14:15], v[30:31]
	v_add_f64 v[16:17], v[22:23], v[14:15]
	v_cvt_i32_f64_e32 v18, v[16:17]
	v_cvt_f64_i32_e32 v[16:17], v18
	v_add_f64 v[14:15], v[14:15], -v[16:17]
	v_add_f64 v[20:21], v[22:23], -v[20:21]
	v_add_f64 v[16:17], v[22:23], v[14:15]
	v_add_f64 v[20:21], v[34:35], -v[20:21]
	v_add_f64 v[14:15], v[16:17], -v[14:15]
	v_add_f64 v[12:13], v[20:21], v[12:13]
	v_add_f64 v[14:15], v[22:23], -v[14:15]
	v_add_f64 v[12:13], v[12:13], v[14:15]
	v_cmp_le_f64_e32 vcc, 0.5, v[16:17]
	v_mov_b32_e32 v14, 0x3ff00000
	v_cndmask_b32_e32 v31, 0, v14, vcc
	v_addc_co_u32_e64 v22, s[0:1], 0, v18, vcc
	v_add_f64 v[14:15], v[16:17], -v[30:31]
	v_add_f64 v[16:17], v[14:15], v[12:13]
	s_mov_b32 s0, 0x54442d18
	v_add_f64 v[14:15], v[16:17], -v[14:15]
	s_mov_b32 s1, 0x3ff921fb
	v_add_f64 v[12:13], v[12:13], -v[14:15]
	v_mul_f64 v[14:15], v[16:17], s[0:1]
	s_mov_b32 s10, 0x33145c07
	v_fma_f64 v[18:19], v[16:17], s[0:1], -v[14:15]
	s_mov_b32 s11, 0x3c91a626
	v_fmac_f64_e32 v[18:19], s[10:11], v[16:17]
	v_fmac_f64_e32 v[18:19], s[0:1], v[12:13]
	v_add_f64 v[12:13], v[14:15], v[18:19]
	v_add_f64 v[14:15], v[12:13], -v[14:15]
	v_add_f64 v[14:15], v[18:19], -v[14:15]
	s_andn2_saveexec_b64 s[0:1], s[8:9]
	s_cbranch_execnz .LBB7_254
	s_branch .LBB7_255
.LBB7_253:
	s_andn2_saveexec_b64 s[0:1], s[8:9]
	s_cbranch_execz .LBB7_255
.LBB7_254:
	s_mov_b32 s8, 0x6dc9c883
	s_mov_b32 s9, 0x3fe45f30
	v_mul_f64 v[12:13], |v[4:5]|, s[8:9]
	s_mov_b32 s8, 0x54442d18
	v_rndne_f64_e32 v[16:17], v[12:13]
	s_mov_b32 s9, 0xbff921fb
	v_fma_f64 v[12:13], v[16:17], s[8:9], |v[4:5]|
	s_mov_b32 s9, 0xbc91a626
	s_mov_b32 s8, 0x33145c00
	v_mul_f64 v[18:19], v[16:17], s[8:9]
	v_add_f64 v[22:23], v[12:13], v[18:19]
	v_fma_f64 v[14:15], s[8:9], v[16:17], v[12:13]
	s_mov_b32 s9, 0x3c91a626
	v_add_f64 v[12:13], v[12:13], -v[22:23]
	v_fma_f64 v[20:21], s[8:9], v[16:17], v[18:19]
	v_add_f64 v[12:13], v[12:13], v[18:19]
	v_add_f64 v[18:19], v[22:23], -v[14:15]
	v_add_f64 v[12:13], v[18:19], v[12:13]
	s_mov_b32 s8, 0x252049c0
	v_add_f64 v[18:19], v[12:13], -v[20:21]
	s_mov_b32 s9, 0xb97b839a
	v_fmac_f64_e32 v[18:19], s[8:9], v[16:17]
	v_add_f64 v[12:13], v[14:15], v[18:19]
	v_add_f64 v[14:15], v[12:13], -v[14:15]
	v_add_f64 v[14:15], v[18:19], -v[14:15]
	v_cvt_i32_f64_e32 v22, v[16:17]
.LBB7_255:
	s_or_b64 exec, exec, s[0:1]
	s_mov_b32 s0, 0
	s_mov_b32 s1, 0x40390000
	v_div_scale_f64 v[16:17], s[8:9], v[6:7], v[6:7], s[0:1]
	v_rcp_f64_e32 v[18:19], v[16:17]
	v_mov_b32_e32 v26, 0x55b218cd
	v_mov_b32_e32 v27, 0xc049b48c
	s_mov_b32 s8, 0x46cc5e42
	v_fma_f64 v[20:21], -v[16:17], v[18:19], 1.0
	v_fmac_f64_e32 v[18:19], v[18:19], v[20:21]
	v_fma_f64 v[20:21], -v[16:17], v[18:19], 1.0
	v_fmac_f64_e32 v[18:19], v[18:19], v[20:21]
	v_div_scale_f64 v[20:21], vcc, s[0:1], v[6:7], s[0:1]
	v_mul_f64 v[24:25], v[20:21], v[18:19]
	v_fma_f64 v[16:17], -v[16:17], v[24:25], v[20:21]
	v_mov_b32_e32 v20, 0xab5454e3
	s_nop 0
	v_div_fmas_f64 v[16:17], v[16:17], v[18:19], v[24:25]
	v_div_fixup_f64 v[16:17], v[16:17], v[6:7], s[0:1]
	v_mov_b32_e32 v6, 0x983b6b27
	v_mov_b32_e32 v7, 0x3f4a1d30
	v_fmac_f64_e32 v[6:7], 0, v[16:17]
	v_mov_b32_e32 v18, 0xb35dd1cf
	v_mov_b32_e32 v19, 0x3fb534b0
	v_fmac_f64_e32 v[18:19], v[16:17], v[6:7]
	;; [unrolled: 3-line block ×7, first 2 shown]
	v_mov_b32_e32 v21, 0x3fb5ebc5
	v_fmac_f64_e32 v[20:21], v[16:17], v[6:7]
	v_mov_b32_e32 v6, 0xc9b3069f
	v_mov_b32_e32 v7, 0x3ff40e72
	v_fmac_f64_e32 v[6:7], v[16:17], v[20:21]
	v_mov_b32_e32 v20, 0xe68162bb
	;; [unrolled: 3-line block ×10, first 2 shown]
	v_mov_b32_e32 v25, 0xc062627a
	v_fmac_f64_e32 v[24:25], v[16:17], v[6:7]
	v_fmac_f64_e32 v[26:27], v[16:17], v[24:25]
	v_mov_b32_e32 v6, 0xd1b9a1dd
	v_mov_b32_e32 v7, 0xc0183358
	;; [unrolled: 1-line block ×4, first 2 shown]
	v_fmac_f64_e32 v[6:7], v[16:17], v[26:27]
	v_fmac_f64_e32 v[24:25], 0, v[16:17]
	v_mov_b32_e32 v26, 0xb1759c7f
	v_mov_b32_e32 v27, 0x408ac370
	v_fmac_f64_e32 v[26:27], v[16:17], v[24:25]
	v_mov_b32_e32 v24, 0xbd748cb5
	v_mov_b32_e32 v25, 0x40ae54cd
	;; [unrolled: 3-line block ×5, first 2 shown]
	v_fma_f64 v[20:21], v[16:17], v[20:21], 1.0
	v_fmac_f64_e32 v[26:27], v[16:17], v[24:25]
	v_fma_f64 v[24:25], v[16:17], v[18:19], 1.0
	v_div_scale_f64 v[28:29], s[0:1], v[20:21], v[20:21], v[24:25]
	v_rcp_f64_e32 v[30:31], v[28:29]
	v_mov_b32_e32 v18, 0x6280a54
	v_mov_b32_e32 v19, 0x406e402f
	v_fmac_f64_e32 v[18:19], v[16:17], v[26:27]
	v_fma_f64 v[16:17], -v[28:29], v[30:31], 1.0
	v_fmac_f64_e32 v[30:31], v[30:31], v[16:17]
	v_fma_f64 v[16:17], -v[28:29], v[30:31], 1.0
	v_fmac_f64_e32 v[30:31], v[30:31], v[16:17]
	v_div_scale_f64 v[16:17], vcc, v[24:25], v[20:21], v[24:25]
	v_mul_f64 v[26:27], v[16:17], v[30:31]
	v_fma_f64 v[16:17], -v[28:29], v[26:27], v[16:17]
	s_mov_b32 s0, 0x9037ab78
	s_nop 0
	v_div_fmas_f64 v[16:17], v[16:17], v[30:31], v[26:27]
	v_div_fixup_f64 v[16:17], v[16:17], v[20:21], v[24:25]
	v_mul_f64 v[24:25], v[8:9], v[8:9]
	v_mul_f64 v[20:21], v[24:25], 0.5
	v_add_f64 v[26:27], -v[20:21], 1.0
	v_add_f64 v[28:29], -v[26:27], 1.0
	s_mov_b32 s1, 0x3e21eeb6
	v_add_f64 v[28:29], v[28:29], -v[20:21]
	s_mov_b32 s9, 0xbda907db
	v_pk_mov_b32 v[20:21], s[0:1], s[0:1] op_sel:[0,1]
	s_mov_b32 s10, 0xa17f65f6
	v_fma_f64 v[32:33], s[8:9], v[24:25], v[20:21]
	s_mov_b32 s11, 0xbe927e4f
	s_mov_b32 s12, 0x19f4ec90
	v_fma_f64 v[32:33], v[24:25], v[32:33], s[10:11]
	s_mov_b32 s13, 0x3efa01a0
	;; [unrolled: 3-line block ×4, first 2 shown]
	v_mul_f64 v[30:31], v[24:25], v[24:25]
	v_fma_f64 v[32:33], v[24:25], v[32:33], s[16:17]
	v_fma_f64 v[28:29], v[8:9], -v[10:11], v[28:29]
	s_mov_b32 s0, 0xb42fdfa7
	v_fmac_f64_e32 v[28:29], v[30:31], v[32:33]
	s_mov_b32 s1, 0xbe5ae600
	s_mov_b32 s18, 0xf9a43bb8
	v_add_f64 v[26:27], v[26:27], v[28:29]
	s_mov_b32 s19, 0x3de5e0b2
	v_pk_mov_b32 v[28:29], s[0:1], s[0:1] op_sel:[0,1]
	s_mov_b32 s20, 0x796cde01
	v_fma_f64 v[30:31], s[18:19], v[24:25], v[28:29]
	s_mov_b32 s21, 0x3ec71de3
	s_mov_b32 s22, 0x19e83e5c
	v_fma_f64 v[30:31], v[24:25], v[30:31], s[20:21]
	s_mov_b32 s23, 0xbf2a01a0
	;; [unrolled: 3-line block ×3, first 2 shown]
	v_fma_f64 v[30:31], v[24:25], v[30:31], s[26:27]
	v_mul_f64 v[32:33], v[8:9], -v[24:25]
	v_mul_f64 v[34:35], v[10:11], 0.5
	v_fmac_f64_e32 v[34:35], v[32:33], v[30:31]
	v_fma_f64 v[10:11], v[24:25], v[34:35], -v[10:11]
	s_mov_b32 s29, 0xbfc55555
	s_mov_b32 s28, s16
	v_fmac_f64_e32 v[10:11], s[28:29], v[32:33]
	v_add_f64 v[8:9], v[8:9], -v[10:11]
	v_and_b32_e32 v10, 1, v1
	v_xor_b32_e32 v9, 0x80000000, v9
	v_cmp_eq_u32_e32 vcc, 0, v10
	v_lshlrev_b32_e32 v1, 30, v1
	s_mov_b32 s30, 0
	v_cndmask_b32_e32 v23, v8, v26, vcc
	v_cndmask_b32_e32 v8, v9, v27, vcc
	v_and_b32_e32 v1, 0x80000000, v1
	s_mov_b32 s31, 0xc0140000
	v_xor_b32_e32 v1, v8, v1
	v_div_scale_f64 v[8:9], s[0:1], v[2:3], v[2:3], s[30:31]
	v_rcp_f64_e32 v[10:11], v[8:9]
	s_movk_i32 s36, 0x1f8
	v_cmp_class_f64_e64 s[0:1], v[4:5], s36
	v_cndmask_b32_e64 v24, 0, v23, s[0:1]
	v_fma_f64 v[26:27], -v[8:9], v[10:11], 1.0
	v_fmac_f64_e32 v[10:11], v[10:11], v[26:27]
	v_fma_f64 v[26:27], -v[8:9], v[10:11], 1.0
	v_fmac_f64_e32 v[10:11], v[10:11], v[26:27]
	v_div_scale_f64 v[26:27], vcc, s[30:31], v[2:3], s[30:31]
	v_mul_f64 v[30:31], v[26:27], v[10:11]
	v_fma_f64 v[8:9], -v[8:9], v[30:31], v[26:27]
	v_div_scale_f64 v[26:27], s[36:37], v[18:19], v[18:19], v[6:7]
	v_rcp_f64_e32 v[32:33], v[26:27]
	v_div_fmas_f64 v[8:9], v[8:9], v[10:11], v[30:31]
	v_div_fixup_f64 v[8:9], v[8:9], v[2:3], s[30:31]
	v_mov_b32_e32 v23, 0x7ff80000
	v_fma_f64 v[10:11], -v[26:27], v[32:33], 1.0
	v_fmac_f64_e32 v[32:33], v[32:33], v[10:11]
	v_fma_f64 v[10:11], -v[26:27], v[32:33], 1.0
	v_fmac_f64_e32 v[32:33], v[32:33], v[10:11]
	v_div_scale_f64 v[10:11], vcc, v[6:7], v[18:19], v[6:7]
	v_mul_f64 v[30:31], v[10:11], v[32:33]
	v_fma_f64 v[10:11], -v[26:27], v[30:31], v[10:11]
	v_cndmask_b32_e64 v25, v23, v1, s[0:1]
	s_nop 0
	v_div_fmas_f64 v[10:11], v[10:11], v[32:33], v[30:31]
	v_div_fixup_f64 v[6:7], v[10:11], v[18:19], v[6:7]
	v_mul_f64 v[6:7], v[8:9], v[6:7]
	v_mul_f64 v[8:9], v[12:13], v[12:13]
	v_mul_f64 v[10:11], v[8:9], 0.5
	v_fmac_f64_e32 v[20:21], s[8:9], v[8:9]
	v_add_f64 v[18:19], -v[10:11], 1.0
	v_fma_f64 v[20:21], v[8:9], v[20:21], s[10:11]
	v_add_f64 v[26:27], -v[18:19], 1.0
	v_fma_f64 v[20:21], v[8:9], v[20:21], s[12:13]
	v_add_f64 v[10:11], v[26:27], -v[10:11]
	v_fma_f64 v[20:21], v[8:9], v[20:21], s[14:15]
	v_mul_f64 v[26:27], v[8:9], v[8:9]
	v_fma_f64 v[20:21], v[8:9], v[20:21], s[16:17]
	v_fma_f64 v[10:11], v[12:13], -v[14:15], v[10:11]
	v_fmac_f64_e32 v[10:11], v[26:27], v[20:21]
	v_fmac_f64_e32 v[28:29], s[18:19], v[8:9]
	v_add_f64 v[10:11], v[18:19], v[10:11]
	v_fma_f64 v[18:19], v[8:9], v[28:29], s[20:21]
	v_fma_f64 v[18:19], v[8:9], v[18:19], s[22:23]
	;; [unrolled: 1-line block ×3, first 2 shown]
	v_mul_f64 v[20:21], v[12:13], -v[8:9]
	v_mul_f64 v[26:27], v[14:15], 0.5
	v_fmac_f64_e32 v[26:27], v[20:21], v[18:19]
	v_fma_f64 v[8:9], v[8:9], v[26:27], -v[14:15]
	v_fmac_f64_e32 v[8:9], s[28:29], v[20:21]
	v_and_b32_e32 v1, 1, v22
	v_add_f64 v[8:9], v[12:13], -v[8:9]
	v_cmp_eq_u32_e32 vcc, 0, v1
	v_cndmask_b32_e32 v1, v10, v8, vcc
	v_lshlrev_b32_e32 v8, 30, v22
	v_xor_b32_e32 v5, v8, v5
	v_cndmask_b32_e32 v4, v11, v9, vcc
	v_and_b32_e32 v5, 0x80000000, v5
	v_xor_b32_e32 v5, v4, v5
	v_cndmask_b32_e64 v4, 0, v1, s[0:1]
	v_cndmask_b32_e64 v5, v23, v5, s[0:1]
	s_mov_b32 s0, 0
	s_brev_b32 s1, 8
	v_cmp_gt_f64_e32 vcc, s[0:1], v[2:3]
	v_cndmask_b32_e64 v1, 0, 1, vcc
	v_lshlrev_b32_e32 v1, 8, v1
	v_ldexp_f64 v[2:3], v[2:3], v1
	v_mul_f64 v[4:5], v[6:7], v[4:5]
	v_rsq_f64_e32 v[6:7], v[2:3]
	v_mov_b32_e32 v1, 0xffffff80
	v_cndmask_b32_e32 v1, 0, v1, vcc
	s_mov_b32 s0, 0x33d43651
	v_mul_f64 v[8:9], v[2:3], v[6:7]
	v_mul_f64 v[6:7], v[6:7], 0.5
	v_fma_f64 v[10:11], -v[6:7], v[8:9], 0.5
	v_fmac_f64_e32 v[8:9], v[8:9], v[10:11]
	v_fma_f64 v[12:13], -v[8:9], v[8:9], v[2:3]
	v_fmac_f64_e32 v[6:7], v[6:7], v[10:11]
	v_fmac_f64_e32 v[8:9], v[12:13], v[6:7]
	v_fma_f64 v[10:11], -v[8:9], v[8:9], v[2:3]
	v_fmac_f64_e32 v[8:9], v[10:11], v[6:7]
	v_ldexp_f64 v[6:7], v[8:9], v1
	v_mov_b32_e32 v1, 0x260
	v_fmac_f64_e32 v[4:5], v[16:17], v[24:25]
	s_mov_b32 s1, 0x3fe98845
	v_cmp_class_f64_e32 vcc, v[2:3], v1
	v_mul_f64 v[4:5], v[4:5], s[0:1]
	v_cndmask_b32_e32 v3, v7, v3, vcc
	v_cndmask_b32_e32 v2, v6, v2, vcc
	v_div_scale_f64 v[6:7], s[0:1], v[2:3], v[2:3], v[4:5]
	v_rcp_f64_e32 v[8:9], v[6:7]
	v_fma_f64 v[10:11], -v[6:7], v[8:9], 1.0
	v_fmac_f64_e32 v[8:9], v[8:9], v[10:11]
	v_fma_f64 v[10:11], -v[6:7], v[8:9], 1.0
	v_fmac_f64_e32 v[8:9], v[8:9], v[10:11]
	v_div_scale_f64 v[10:11], vcc, v[4:5], v[2:3], v[4:5]
	v_mul_f64 v[12:13], v[10:11], v[8:9]
	v_fma_f64 v[6:7], -v[6:7], v[12:13], v[10:11]
	s_nop 1
	v_div_fmas_f64 v[6:7], v[6:7], v[8:9], v[12:13]
	v_div_fixup_f64 v[4:5], v[6:7], v[2:3], v[4:5]
.LBB7_256:
	s_or_b64 exec, exec, s[2:3]
	global_store_dwordx2 v0, v[4:5], s[24:25]
	s_or_b64 exec, exec, s[48:49]
                                        ; implicit-def: $vgpr9
                                        ; implicit-def: $vgpr22
	s_andn2_saveexec_b64 s[0:1], s[34:35]
	s_cbranch_execz .LBB7_199
	s_branch .LBB7_9
	.section	.rodata,"a",@progbits
	.p2align	6, 0x0
	.amdhsa_kernel _ZN2at6native32elementwise_kernel_manual_unrollILi128ELi4EZNS0_22gpu_kernel_impl_nocastIZZZNS0_12_GLOBAL__N_121bessel_j0_kernel_cudaERNS_18TensorIteratorBaseEENKUlvE_clEvENKUlvE_clEvEUldE_EEvS5_RKT_EUlibE_EEviT1_
		.amdhsa_group_segment_fixed_size 0
		.amdhsa_private_segment_fixed_size 0
		.amdhsa_kernarg_size 360
		.amdhsa_user_sgpr_count 6
		.amdhsa_user_sgpr_private_segment_buffer 1
		.amdhsa_user_sgpr_dispatch_ptr 0
		.amdhsa_user_sgpr_queue_ptr 0
		.amdhsa_user_sgpr_kernarg_segment_ptr 1
		.amdhsa_user_sgpr_dispatch_id 0
		.amdhsa_user_sgpr_flat_scratch_init 0
		.amdhsa_user_sgpr_kernarg_preload_length 0
		.amdhsa_user_sgpr_kernarg_preload_offset 0
		.amdhsa_user_sgpr_private_segment_size 0
		.amdhsa_uses_dynamic_stack 0
		.amdhsa_system_sgpr_private_segment_wavefront_offset 0
		.amdhsa_system_sgpr_workgroup_id_x 1
		.amdhsa_system_sgpr_workgroup_id_y 0
		.amdhsa_system_sgpr_workgroup_id_z 0
		.amdhsa_system_sgpr_workgroup_info 0
		.amdhsa_system_vgpr_workitem_id 0
		.amdhsa_next_free_vgpr 46
		.amdhsa_next_free_sgpr 62
		.amdhsa_accum_offset 48
		.amdhsa_reserve_vcc 1
		.amdhsa_reserve_flat_scratch 0
		.amdhsa_float_round_mode_32 0
		.amdhsa_float_round_mode_16_64 0
		.amdhsa_float_denorm_mode_32 3
		.amdhsa_float_denorm_mode_16_64 3
		.amdhsa_dx10_clamp 1
		.amdhsa_ieee_mode 1
		.amdhsa_fp16_overflow 0
		.amdhsa_tg_split 0
		.amdhsa_exception_fp_ieee_invalid_op 0
		.amdhsa_exception_fp_denorm_src 0
		.amdhsa_exception_fp_ieee_div_zero 0
		.amdhsa_exception_fp_ieee_overflow 0
		.amdhsa_exception_fp_ieee_underflow 0
		.amdhsa_exception_fp_ieee_inexact 0
		.amdhsa_exception_int_div_zero 0
	.end_amdhsa_kernel
	.section	.text._ZN2at6native32elementwise_kernel_manual_unrollILi128ELi4EZNS0_22gpu_kernel_impl_nocastIZZZNS0_12_GLOBAL__N_121bessel_j0_kernel_cudaERNS_18TensorIteratorBaseEENKUlvE_clEvENKUlvE_clEvEUldE_EEvS5_RKT_EUlibE_EEviT1_,"axG",@progbits,_ZN2at6native32elementwise_kernel_manual_unrollILi128ELi4EZNS0_22gpu_kernel_impl_nocastIZZZNS0_12_GLOBAL__N_121bessel_j0_kernel_cudaERNS_18TensorIteratorBaseEENKUlvE_clEvENKUlvE_clEvEUldE_EEvS5_RKT_EUlibE_EEviT1_,comdat
.Lfunc_end7:
	.size	_ZN2at6native32elementwise_kernel_manual_unrollILi128ELi4EZNS0_22gpu_kernel_impl_nocastIZZZNS0_12_GLOBAL__N_121bessel_j0_kernel_cudaERNS_18TensorIteratorBaseEENKUlvE_clEvENKUlvE_clEvEUldE_EEvS5_RKT_EUlibE_EEviT1_, .Lfunc_end7-_ZN2at6native32elementwise_kernel_manual_unrollILi128ELi4EZNS0_22gpu_kernel_impl_nocastIZZZNS0_12_GLOBAL__N_121bessel_j0_kernel_cudaERNS_18TensorIteratorBaseEENKUlvE_clEvENKUlvE_clEvEUldE_EEvS5_RKT_EUlibE_EEviT1_
                                        ; -- End function
	.section	.AMDGPU.csdata,"",@progbits
; Kernel info:
; codeLenInByte = 38332
; NumSgprs: 66
; NumVgprs: 46
; NumAgprs: 0
; TotalNumVgprs: 46
; ScratchSize: 0
; MemoryBound: 0
; FloatMode: 240
; IeeeMode: 1
; LDSByteSize: 0 bytes/workgroup (compile time only)
; SGPRBlocks: 8
; VGPRBlocks: 5
; NumSGPRsForWavesPerEU: 66
; NumVGPRsForWavesPerEU: 46
; AccumOffset: 48
; Occupancy: 8
; WaveLimiterHint : 1
; COMPUTE_PGM_RSRC2:SCRATCH_EN: 0
; COMPUTE_PGM_RSRC2:USER_SGPR: 6
; COMPUTE_PGM_RSRC2:TRAP_HANDLER: 0
; COMPUTE_PGM_RSRC2:TGID_X_EN: 1
; COMPUTE_PGM_RSRC2:TGID_Y_EN: 0
; COMPUTE_PGM_RSRC2:TGID_Z_EN: 0
; COMPUTE_PGM_RSRC2:TIDIG_COMP_CNT: 0
; COMPUTE_PGM_RSRC3_GFX90A:ACCUM_OFFSET: 11
; COMPUTE_PGM_RSRC3_GFX90A:TG_SPLIT: 0
	.text
	.p2align	2                               ; -- Begin function _ZN2at6native6invokeIZZZNS0_12_GLOBAL__N_121bessel_j0_kernel_cudaERNS_18TensorIteratorBaseEENKUlvE_clEvENKUlvE_clEvEUldE_i15function_traitsIS7_EEENT1_11result_typeERKT_PrKPcPKT0_PKN3c1010ScalarTypeEi
	.type	_ZN2at6native6invokeIZZZNS0_12_GLOBAL__N_121bessel_j0_kernel_cudaERNS_18TensorIteratorBaseEENKUlvE_clEvENKUlvE_clEvEUldE_i15function_traitsIS7_EEENT1_11result_typeERKT_PrKPcPKT0_PKN3c1010ScalarTypeEi,@function
_ZN2at6native6invokeIZZZNS0_12_GLOBAL__N_121bessel_j0_kernel_cudaERNS_18TensorIteratorBaseEENKUlvE_clEvENKUlvE_clEvEUldE_i15function_traitsIS7_EEENT1_11result_typeERKT_PrKPcPKT0_PKN3c1010ScalarTypeEi: ; @_ZN2at6native6invokeIZZZNS0_12_GLOBAL__N_121bessel_j0_kernel_cudaERNS_18TensorIteratorBaseEENKUlvE_clEvENKUlvE_clEvEUldE_i15function_traitsIS7_EEENT1_11result_typeERKT_PrKPcPKT0_PKN3c1010ScalarTypeEi
; %bb.0:
	s_waitcnt vmcnt(0) expcnt(0) lgkmcnt(0)
	s_xor_saveexec_b64 s[4:5], -1
	buffer_store_dword v36, off, s[0:3], s32 ; 4-byte Folded Spill
	s_mov_b64 exec, s[4:5]
	v_writelane_b32 v36, s34, 0
	v_writelane_b32 v36, s35, 1
	;; [unrolled: 1-line block ×4, first 2 shown]
	v_mul_lo_u32 v2, v4, v2
	v_ashrrev_i32_e32 v4, 31, v2
	v_add_co_u32_e32 v0, vcc, v0, v2
	v_mov_b32_e32 v2, 10
	v_addc_co_u32_e32 v1, vcc, v1, v4, vcc
	v_cmp_gt_i16_sdwa s[4:5], v3, v2 src0_sel:BYTE_0 src1_sel:DWORD
	s_mov_b64 s[8:9], 0
                                        ; implicit-def: $vgpr4_vgpr5
	s_and_saveexec_b64 s[6:7], s[4:5]
	s_xor_b64 s[4:5], exec, s[6:7]
	s_cbranch_execz .LBB8_40
; %bb.1:
	v_mov_b32_e32 v2, 25
	v_cmp_gt_i16_sdwa s[10:11], v3, v2 src0_sel:BYTE_0 src1_sel:DWORD
	s_mov_b64 s[6:7], 0
	s_mov_b64 s[12:13], 0
                                        ; implicit-def: $vgpr4_vgpr5
	s_and_saveexec_b64 s[14:15], s[10:11]
	s_xor_b64 s[10:11], exec, s[14:15]
	s_cbranch_execz .LBB8_91
; %bb.2:
	v_mov_b32_e32 v2, 28
	v_cmp_gt_i16_sdwa s[8:9], v3, v2 src0_sel:BYTE_0 src1_sel:DWORD
	s_mov_b64 s[14:15], 0
                                        ; implicit-def: $vgpr4_vgpr5
	s_and_saveexec_b64 s[16:17], s[8:9]
	s_xor_b64 s[8:9], exec, s[16:17]
	s_cbranch_execz .LBB8_18
; %bb.3:
	v_mov_b32_e32 v2, 43
	v_cmp_gt_i16_sdwa s[12:13], v3, v2 src0_sel:BYTE_0 src1_sel:DWORD
	s_mov_b64 s[16:17], 0
	s_mov_b64 s[18:19], 0
                                        ; implicit-def: $vgpr4_vgpr5
	s_and_saveexec_b64 s[14:15], s[12:13]
	s_xor_b64 s[12:13], exec, s[14:15]
	s_cbranch_execz .LBB8_13
; %bb.4:
	v_mov_b32_e32 v2, 45
	v_cmp_gt_i16_sdwa s[18:19], v3, v2 src0_sel:BYTE_0 src1_sel:DWORD
	s_mov_b64 s[14:15], 0
                                        ; implicit-def: $vgpr4_vgpr5
	s_and_saveexec_b64 s[20:21], s[18:19]
	s_xor_b64 s[18:19], exec, s[20:21]
	s_cbranch_execz .LBB8_8
; %bb.5:
	v_mov_b32_e32 v2, 46
	v_cmp_eq_u16_sdwa s[22:23], v3, v2 src0_sel:BYTE_0 src1_sel:DWORD
	s_mov_b64 s[20:21], -1
                                        ; implicit-def: $vgpr4_vgpr5
	s_and_saveexec_b64 s[16:17], s[22:23]
	s_cbranch_execz .LBB8_7
; %bb.6:
	flat_load_dword v2, v[0:1]
	s_mov_b64 s[14:15], exec
	s_xor_b64 s[20:21], exec, -1
	s_waitcnt vmcnt(0) lgkmcnt(0)
	v_lshlrev_b32_e32 v2, 16, v2
	v_cvt_f64_f32_e32 v[4:5], v2
.LBB8_7:
	s_or_b64 exec, exec, s[16:17]
	s_and_b64 s[16:17], s[14:15], exec
	s_and_b64 s[14:15], s[20:21], exec
                                        ; implicit-def: $vgpr3
.LBB8_8:
	s_andn2_saveexec_b64 s[18:19], s[18:19]
	s_cbranch_execz .LBB8_12
; %bb.9:
	v_mov_b32_e32 v2, 44
	v_cmp_eq_u16_sdwa s[26:27], v3, v2 src0_sel:BYTE_0 src1_sel:DWORD
	s_mov_b64 s[24:25], -1
	s_mov_b64 s[22:23], s[16:17]
                                        ; implicit-def: $vgpr4_vgpr5
	s_and_saveexec_b64 s[20:21], s[26:27]
	s_cbranch_execz .LBB8_11
; %bb.10:
	flat_load_ubyte v4, v[0:1]
	s_movk_i32 s24, 0xff
	v_bfrev_b32_e32 v5, 4
	v_mov_b32_e32 v6, 0x7ff80000
	v_bfrev_b32_e32 v7, 28
	s_or_b64 s[22:23], s[16:17], exec
	s_waitcnt vmcnt(0) lgkmcnt(0)
	v_lshlrev_b32_e32 v2, 23, v4
	v_cvt_f64_f32_e32 v[2:3], v2
	v_cmp_ne_u32_e32 vcc, s24, v4
	v_cndmask_b32_e32 v2, v5, v2, vcc
	v_cndmask_b32_e32 v3, v6, v3, vcc
	v_cmp_ne_u32_e32 vcc, 0, v4
	v_cndmask_b32_e32 v5, v7, v3, vcc
	v_cndmask_b32_e32 v4, 0, v2, vcc
	s_xor_b64 s[24:25], exec, -1
.LBB8_11:
	s_or_b64 exec, exec, s[20:21]
	s_andn2_b64 s[16:17], s[16:17], exec
	s_and_b64 s[20:21], s[22:23], exec
	s_or_b64 s[16:17], s[16:17], s[20:21]
	s_andn2_b64 s[14:15], s[14:15], exec
	s_and_b64 s[20:21], s[24:25], exec
	s_or_b64 s[14:15], s[14:15], s[20:21]
.LBB8_12:
	s_or_b64 exec, exec, s[18:19]
	s_and_b64 s[18:19], s[16:17], exec
	s_and_b64 s[16:17], s[14:15], exec
                                        ; implicit-def: $vgpr3
.LBB8_13:
	s_andn2_saveexec_b64 s[12:13], s[12:13]
	s_cbranch_execz .LBB8_17
; %bb.14:
	v_mov_b32_e32 v2, 29
	v_cmp_eq_u16_sdwa s[24:25], v3, v2 src0_sel:BYTE_0 src1_sel:DWORD
	s_mov_b64 s[14:15], -1
	s_mov_b64 s[20:21], s[18:19]
                                        ; implicit-def: $vgpr4_vgpr5
	s_and_saveexec_b64 s[22:23], s[24:25]
	s_cbranch_execz .LBB8_16
; %bb.15:
	flat_load_dwordx2 v[2:3], v[0:1]
	s_or_b64 s[20:21], s[18:19], exec
	s_xor_b64 s[14:15], exec, -1
	s_waitcnt vmcnt(0) lgkmcnt(0)
	v_cvt_f64_u32_e32 v[4:5], v3
	v_cvt_f64_u32_e32 v[2:3], v2
	v_ldexp_f64 v[4:5], v[4:5], 32
	v_add_f64 v[4:5], v[4:5], v[2:3]
.LBB8_16:
	s_or_b64 exec, exec, s[22:23]
	s_andn2_b64 s[18:19], s[18:19], exec
	s_and_b64 s[20:21], s[20:21], exec
	s_andn2_b64 s[16:17], s[16:17], exec
	s_and_b64 s[14:15], s[14:15], exec
	s_or_b64 s[18:19], s[18:19], s[20:21]
	s_or_b64 s[16:17], s[16:17], s[14:15]
.LBB8_17:
	s_or_b64 exec, exec, s[12:13]
	s_and_b64 s[14:15], s[18:19], exec
	s_and_b64 s[12:13], s[16:17], exec
                                        ; implicit-def: $vgpr3
.LBB8_18:
	s_andn2_saveexec_b64 s[8:9], s[8:9]
	s_cbranch_execz .LBB8_34
; %bb.19:
	v_mov_b32_e32 v2, 26
	v_cmp_gt_i16_sdwa s[16:17], v3, v2 src0_sel:BYTE_0 src1_sel:DWORD
                                        ; implicit-def: $vgpr4_vgpr5
	s_and_saveexec_b64 s[18:19], s[16:17]
	s_xor_b64 s[16:17], exec, s[18:19]
	s_cbranch_execz .LBB8_25
; %bb.20:
	v_mov_b32_e32 v2, 27
	v_cmp_gt_i16_sdwa s[18:19], v3, v2 src0_sel:BYTE_0 src1_sel:DWORD
                                        ; implicit-def: $vgpr4_vgpr5
	s_and_saveexec_b64 s[20:21], s[18:19]
	s_xor_b64 s[18:19], exec, s[20:21]
	s_cbranch_execz .LBB8_22
; %bb.21:
	flat_load_dword v2, v[0:1]
	s_waitcnt vmcnt(0) lgkmcnt(0)
	v_cvt_f64_u32_e32 v[4:5], v2
.LBB8_22:
	s_andn2_saveexec_b64 s[18:19], s[18:19]
	s_cbranch_execz .LBB8_24
; %bb.23:
	flat_load_ushort v2, v[0:1]
	s_waitcnt vmcnt(0) lgkmcnt(0)
	v_cvt_f64_u32_e32 v[4:5], v2
.LBB8_24:
	s_or_b64 exec, exec, s[18:19]
.LBB8_25:
	s_andn2_saveexec_b64 s[16:17], s[16:17]
	s_cbranch_execz .LBB8_33
; %bb.26:
	flat_load_ubyte v2, v[0:1]
	s_movk_i32 s18, 0x7f
                                        ; implicit-def: $sgpr20_sgpr21
	s_waitcnt vmcnt(0) lgkmcnt(0)
	v_cmp_lt_i16_e32 vcc, s18, v2
	s_mov_b64 s[18:19], 0
	s_and_saveexec_b64 s[22:23], vcc
	s_xor_b64 s[22:23], exec, s[22:23]
	s_cbranch_execz .LBB8_127
; %bb.27:
	s_movk_i32 s18, 0x80
	v_cmp_eq_u16_e32 vcc, s18, v2
	s_mov_b64 s[24:25], -1
                                        ; implicit-def: $sgpr20_sgpr21
	s_and_saveexec_b64 s[18:19], vcc
; %bb.28:
	s_mov_b32 s21, 0x7ff80000
	s_brev_b32 s20, 4
	s_xor_b64 s[24:25], exec, -1
; %bb.29:
	s_or_b64 exec, exec, s[18:19]
	s_and_b64 s[18:19], s[24:25], exec
	s_or_saveexec_b64 s[22:23], s[22:23]
	v_pk_mov_b32 v[4:5], s[20:21], s[20:21] op_sel:[0,1]
	s_xor_b64 exec, exec, s[22:23]
	s_cbranch_execnz .LBB8_128
.LBB8_30:
	s_or_b64 exec, exec, s[22:23]
	s_and_saveexec_b64 s[20:21], s[18:19]
	s_cbranch_execz .LBB8_32
.LBB8_31:
	v_lshlrev_b32_e32 v3, 24, v2
	v_and_b32_e32 v2, 0xffff, v2
	v_and_b32_e32 v4, 7, v2
	v_ffbh_u32_e32 v6, v4
	v_min_u32_e32 v6, 32, v6
	v_subrev_u32_e32 v7, 28, v6
	v_bfe_u32 v5, v2, 3, 4
	v_lshlrev_b32_e32 v2, v7, v2
	v_sub_u32_e32 v6, 29, v6
	v_and_b32_e32 v2, 7, v2
	v_cmp_eq_u32_e32 vcc, 0, v5
	v_cndmask_b32_e32 v5, v5, v6, vcc
	v_cndmask_b32_e32 v2, v4, v2, vcc
	v_mov_b32_e32 v4, 0x3b800000
	v_lshlrev_b32_e32 v2, 20, v2
	v_and_b32_e32 v3, 0x80000000, v3
	v_lshl_add_u32 v4, v5, 23, v4
	v_or3_b32 v2, v3, v4, v2
	v_cvt_f64_f32_e32 v[4:5], v2
.LBB8_32:
	s_or_b64 exec, exec, s[20:21]
.LBB8_33:
	s_or_b64 exec, exec, s[16:17]
	s_or_b64 s[14:15], s[14:15], exec
.LBB8_34:
	s_or_b64 exec, exec, s[8:9]
	s_and_b64 s[8:9], s[14:15], exec
	s_and_b64 s[12:13], s[12:13], exec
                                        ; implicit-def: $vgpr3
	s_andn2_saveexec_b64 s[10:11], s[10:11]
	s_cbranch_execnz .LBB8_92
.LBB8_35:
	s_or_b64 exec, exec, s[10:11]
	s_and_saveexec_b64 s[10:11], s[12:13]
	s_cbranch_execnz .LBB8_117
.LBB8_36:
	s_or_b64 exec, exec, s[10:11]
	s_and_saveexec_b64 s[10:11], s[6:7]
	s_xor_b64 s[6:7], exec, s[10:11]
	s_cbranch_execz .LBB8_38
.LBB8_37:
	flat_load_ubyte v0, v[0:1]
	v_mov_b32_e32 v1, 0x3ff00000
	v_mov_b32_e32 v4, 0
	s_or_b64 s[8:9], s[8:9], exec
	s_waitcnt vmcnt(0) lgkmcnt(0)
	v_cmp_ne_u16_e32 vcc, 0, v0
	v_cndmask_b32_e32 v5, 0, v1, vcc
.LBB8_38:
	s_or_b64 exec, exec, s[6:7]
	s_and_b64 s[8:9], s[8:9], exec
                                        ; implicit-def: $vgpr3
                                        ; implicit-def: $vgpr0_vgpr1
	s_andn2_saveexec_b64 s[4:5], s[4:5]
	s_cbranch_execnz .LBB8_41
.LBB8_39:
	s_or_b64 exec, exec, s[4:5]
                                        ; implicit-def: $vgpr0_vgpr1
	s_and_saveexec_b64 s[6:7], s[8:9]
	s_cbranch_execnz .LBB8_82
	s_branch .LBB8_126
.LBB8_40:
	s_andn2_saveexec_b64 s[4:5], s[4:5]
	s_cbranch_execz .LBB8_39
.LBB8_41:
	v_mov_b32_e32 v2, 4
	v_cmp_gt_i16_sdwa s[6:7], v3, v2 src0_sel:BYTE_0 src1_sel:DWORD
                                        ; implicit-def: $vgpr4_vgpr5
	s_and_saveexec_b64 s[10:11], s[6:7]
	s_xor_b64 s[6:7], exec, s[10:11]
	s_cbranch_execz .LBB8_63
; %bb.42:
	v_mov_b32_e32 v2, 7
	v_cmp_gt_i16_sdwa s[10:11], v3, v2 src0_sel:BYTE_0 src1_sel:DWORD
                                        ; implicit-def: $vgpr4_vgpr5
	s_and_saveexec_b64 s[12:13], s[10:11]
	s_xor_b64 s[10:11], exec, s[12:13]
	s_cbranch_execz .LBB8_52
; %bb.43:
	;; [unrolled: 7-line block ×4, first 2 shown]
	flat_load_dwordx2 v[4:5], v[0:1]
                                        ; implicit-def: $vgpr0_vgpr1
.LBB8_46:
	s_andn2_saveexec_b64 s[14:15], s[14:15]
	s_cbranch_execz .LBB8_48
; %bb.47:
	flat_load_dword v0, v[0:1]
	s_waitcnt vmcnt(0) lgkmcnt(0)
	v_cvt_f64_f32_e32 v[4:5], v0
.LBB8_48:
	s_or_b64 exec, exec, s[14:15]
                                        ; implicit-def: $vgpr0_vgpr1
.LBB8_49:
	s_andn2_saveexec_b64 s[12:13], s[12:13]
	s_cbranch_execz .LBB8_51
; %bb.50:
	flat_load_dword v0, v[0:1]
	s_waitcnt vmcnt(0) lgkmcnt(0)
	v_cvt_f32_f16_e32 v0, v0
	v_cvt_f64_f32_e32 v[4:5], v0
.LBB8_51:
	s_or_b64 exec, exec, s[12:13]
                                        ; implicit-def: $vgpr0_vgpr1
                                        ; implicit-def: $vgpr3
.LBB8_52:
	s_andn2_saveexec_b64 s[10:11], s[10:11]
	s_cbranch_execz .LBB8_62
; %bb.53:
	v_mov_b32_e32 v2, 5
	v_cmp_gt_i16_sdwa s[12:13], v3, v2 src0_sel:BYTE_0 src1_sel:DWORD
                                        ; implicit-def: $vgpr4_vgpr5
	s_and_saveexec_b64 s[14:15], s[12:13]
	s_xor_b64 s[12:13], exec, s[14:15]
	s_cbranch_execz .LBB8_59
; %bb.54:
	v_mov_b32_e32 v2, 6
	v_cmp_gt_i16_sdwa s[14:15], v3, v2 src0_sel:BYTE_0 src1_sel:DWORD
                                        ; implicit-def: $vgpr4_vgpr5
	s_and_saveexec_b64 s[16:17], s[14:15]
	s_xor_b64 s[14:15], exec, s[16:17]
	s_cbranch_execz .LBB8_56
; %bb.55:
	s_waitcnt vmcnt(0) lgkmcnt(0)
	flat_load_dwordx2 v[4:5], v[0:1]
                                        ; implicit-def: $vgpr0_vgpr1
.LBB8_56:
	s_andn2_saveexec_b64 s[14:15], s[14:15]
	s_cbranch_execz .LBB8_58
; %bb.57:
	flat_load_dword v0, v[0:1]
	s_waitcnt vmcnt(0) lgkmcnt(0)
	v_cvt_f64_f32_e32 v[4:5], v0
.LBB8_58:
	s_or_b64 exec, exec, s[14:15]
                                        ; implicit-def: $vgpr0_vgpr1
.LBB8_59:
	s_andn2_saveexec_b64 s[12:13], s[12:13]
	s_cbranch_execz .LBB8_61
; %bb.60:
	flat_load_ushort v0, v[0:1]
	s_waitcnt vmcnt(0) lgkmcnt(0)
	v_cvt_f32_f16_e32 v0, v0
	v_cvt_f64_f32_e32 v[4:5], v0
.LBB8_61:
	s_or_b64 exec, exec, s[12:13]
.LBB8_62:
	s_or_b64 exec, exec, s[10:11]
                                        ; implicit-def: $vgpr3
                                        ; implicit-def: $vgpr0_vgpr1
.LBB8_63:
	s_andn2_saveexec_b64 s[6:7], s[6:7]
	s_cbranch_execz .LBB8_81
; %bb.64:
	v_mov_b32_e32 v2, 1
	v_cmp_gt_i16_sdwa s[10:11], v3, v2 src0_sel:BYTE_0 src1_sel:DWORD
                                        ; implicit-def: $vgpr4_vgpr5
	s_and_saveexec_b64 s[12:13], s[10:11]
	s_xor_b64 s[10:11], exec, s[12:13]
	s_cbranch_execz .LBB8_74
; %bb.65:
	v_mov_b32_e32 v2, 2
	v_cmp_gt_i16_sdwa s[12:13], v3, v2 src0_sel:BYTE_0 src1_sel:DWORD
                                        ; implicit-def: $vgpr4_vgpr5
	s_and_saveexec_b64 s[14:15], s[12:13]
	s_xor_b64 s[12:13], exec, s[14:15]
	s_cbranch_execz .LBB8_71
; %bb.66:
	v_mov_b32_e32 v2, 3
	v_cmp_gt_i16_sdwa s[14:15], v3, v2 src0_sel:BYTE_0 src1_sel:DWORD
                                        ; implicit-def: $vgpr4_vgpr5
	s_and_saveexec_b64 s[16:17], s[14:15]
	s_xor_b64 s[14:15], exec, s[16:17]
	s_cbranch_execz .LBB8_68
; %bb.67:
	flat_load_dwordx2 v[0:1], v[0:1]
	s_waitcnt vmcnt(0) lgkmcnt(0)
	v_cvt_f64_i32_e32 v[2:3], v1
	v_ldexp_f64 v[2:3], v[2:3], 32
	v_cvt_f64_u32_e32 v[0:1], v0
	v_add_f64 v[4:5], v[2:3], v[0:1]
                                        ; implicit-def: $vgpr0_vgpr1
.LBB8_68:
	s_andn2_saveexec_b64 s[14:15], s[14:15]
	s_cbranch_execz .LBB8_70
; %bb.69:
	flat_load_dword v0, v[0:1]
	s_waitcnt vmcnt(0) lgkmcnt(0)
	v_cvt_f64_i32_e32 v[4:5], v0
.LBB8_70:
	s_or_b64 exec, exec, s[14:15]
                                        ; implicit-def: $vgpr0_vgpr1
.LBB8_71:
	s_andn2_saveexec_b64 s[12:13], s[12:13]
	s_cbranch_execz .LBB8_73
; %bb.72:
	flat_load_sshort v0, v[0:1]
	s_waitcnt vmcnt(0) lgkmcnt(0)
	v_cvt_f64_i32_e32 v[4:5], v0
.LBB8_73:
	s_or_b64 exec, exec, s[12:13]
                                        ; implicit-def: $vgpr0_vgpr1
                                        ; implicit-def: $vgpr3
.LBB8_74:
	s_andn2_saveexec_b64 s[10:11], s[10:11]
	s_cbranch_execz .LBB8_80
; %bb.75:
	v_mov_b32_e32 v2, 0
	v_cmp_gt_i16_sdwa s[12:13], v3, v2 src0_sel:BYTE_0 src1_sel:DWORD
                                        ; implicit-def: $vgpr4_vgpr5
	s_and_saveexec_b64 s[14:15], s[12:13]
	s_xor_b64 s[12:13], exec, s[14:15]
	s_cbranch_execz .LBB8_77
; %bb.76:
	flat_load_sbyte v0, v[0:1]
	s_waitcnt vmcnt(0) lgkmcnt(0)
	v_cvt_f64_i32_e32 v[4:5], v0
                                        ; implicit-def: $vgpr0_vgpr1
.LBB8_77:
	s_andn2_saveexec_b64 s[12:13], s[12:13]
	s_cbranch_execz .LBB8_79
; %bb.78:
	flat_load_ubyte v0, v[0:1]
	s_waitcnt vmcnt(0) lgkmcnt(0)
	v_cvt_f64_u32_e32 v[4:5], v0
.LBB8_79:
	s_or_b64 exec, exec, s[12:13]
.LBB8_80:
	s_or_b64 exec, exec, s[10:11]
.LBB8_81:
	s_or_b64 exec, exec, s[6:7]
	s_or_b64 s[8:9], s[8:9], exec
	s_or_b64 exec, exec, s[4:5]
                                        ; implicit-def: $vgpr0_vgpr1
	s_and_saveexec_b64 s[6:7], s[8:9]
	s_cbranch_execz .LBB8_126
.LBB8_82:
	s_waitcnt vmcnt(0) lgkmcnt(0)
	v_xor_b32_e32 v0, 0x80000000, v5
	v_cmp_gt_f64_e32 vcc, 0, v[4:5]
	s_mov_b32 s4, 0
	v_cndmask_b32_e32 v3, v5, v0, vcc
	v_cndmask_b32_e32 v2, v4, v4, vcc
	s_mov_b32 s5, 0x40140000
	v_cmp_ge_f64_e32 vcc, s[4:5], v[2:3]
	v_mul_f64 v[4:5], v[2:3], v[2:3]
                                        ; implicit-def: $vgpr0_vgpr1
	s_and_saveexec_b64 s[4:5], vcc
	s_xor_b64 s[4:5], exec, s[4:5]
	s_cbranch_execz .LBB8_88
; %bb.83:
	s_mov_b32 s8, 0x88e368f1
	s_mov_b32 s9, 0x3ee4f8b5
	v_cmp_ngt_f64_e32 vcc, s[8:9], v[2:3]
                                        ; implicit-def: $vgpr0_vgpr1
	s_and_saveexec_b64 s[8:9], vcc
	s_xor_b64 s[8:9], exec, s[8:9]
	s_cbranch_execz .LBB8_85
; %bb.84:
	v_mov_b32_e32 v0, 0xad1c8325
	v_mov_b32_e32 v1, 0xc1f1dc53
	v_fmac_f64_e32 v[0:1], 0, v[4:5]
	v_mov_b32_e32 v2, 0xc772990d
	v_mov_b32_e32 v3, 0x427c7751
	v_fmac_f64_e32 v[2:3], v[4:5], v[0:1]
	;; [unrolled: 3-line block ×10, first 2 shown]
	v_mov_b32_e32 v6, 0xc7b662cc
	v_mov_b32_e32 v7, 0x43b7be34
	s_mov_b32 s10, 0x80462bbb
	v_fmac_f64_e32 v[6:7], v[4:5], v[2:3]
	v_mov_b32_e32 v2, 0x69ff5fb4
	v_mov_b32_e32 v3, 0x43413ef8
	s_mov_b32 s11, 0xc01721fb
	v_fmac_f64_e32 v[2:3], v[4:5], v[0:1]
	v_add_f64 v[0:1], v[4:5], s[10:11]
	s_mov_b32 s10, 0xa621dd6f
	s_mov_b32 s11, 0xc03e78a4
	v_add_f64 v[4:5], v[4:5], s[10:11]
	v_mul_f64 v[0:1], v[0:1], v[4:5]
	v_mul_f64 v[0:1], v[0:1], v[2:3]
	v_div_scale_f64 v[2:3], s[10:11], v[6:7], v[6:7], v[0:1]
	v_rcp_f64_e32 v[4:5], v[2:3]
	v_fma_f64 v[8:9], -v[2:3], v[4:5], 1.0
	v_fmac_f64_e32 v[4:5], v[4:5], v[8:9]
	v_fma_f64 v[8:9], -v[2:3], v[4:5], 1.0
	v_fmac_f64_e32 v[4:5], v[4:5], v[8:9]
	v_div_scale_f64 v[8:9], vcc, v[0:1], v[6:7], v[0:1]
	v_mul_f64 v[10:11], v[8:9], v[4:5]
	v_fma_f64 v[2:3], -v[2:3], v[10:11], v[8:9]
	s_nop 1
	v_div_fmas_f64 v[2:3], v[2:3], v[4:5], v[10:11]
	v_div_fixup_f64 v[0:1], v[2:3], v[6:7], v[0:1]
                                        ; implicit-def: $vgpr4_vgpr5
.LBB8_85:
	s_andn2_saveexec_b64 s[8:9], s[8:9]
; %bb.86:
	s_mov_b32 s10, 0
	s_mov_b32 s11, 0xbfd00000
	v_fma_f64 v[0:1], v[4:5], s[10:11], 1.0
; %bb.87:
	s_or_b64 exec, exec, s[8:9]
                                        ; implicit-def: $vgpr4_vgpr5
                                        ; implicit-def: $vgpr2_vgpr3
.LBB8_88:
	s_andn2_saveexec_b64 s[8:9], s[4:5]
	s_cbranch_execz .LBB8_125
; %bb.89:
	s_mov_b32 s13, 0xbfe921fb
	s_mov_b32 s12, 0x54442d18
	;; [unrolled: 1-line block ×3, first 2 shown]
	v_add_f64 v[0:1], v[2:3], s[12:13]
	s_mov_b32 s5, 0x41d00000
	v_cmp_nlt_f64_e64 s[10:11], |v[0:1]|, s[4:5]
	v_trig_preop_f64 v[18:19], |v[0:1]|, 0
	v_trig_preop_f64 v[16:17], |v[0:1]|, 1
	;; [unrolled: 1-line block ×3, first 2 shown]
                                        ; implicit-def: $vgpr24
                                        ; implicit-def: $vgpr6_vgpr7
                                        ; implicit-def: $vgpr8_vgpr9
	s_and_saveexec_b64 s[4:5], s[10:11]
	s_xor_b64 s[14:15], exec, s[4:5]
	s_cbranch_execz .LBB8_118
; %bb.90:
	s_mov_b32 s4, 0
	s_mov_b32 s5, 0x7b000000
	s_movk_i32 s13, 0xff80
	v_and_b32_e32 v8, 0x7fffffff, v1
	v_ldexp_f64 v[6:7], |v[0:1]|, s13
	v_cmp_ge_f64_e64 vcc, |v[0:1]|, s[4:5]
	v_cndmask_b32_e32 v7, v8, v7, vcc
	v_cndmask_b32_e32 v6, v0, v6, vcc
	v_mul_f64 v[10:11], v[18:19], v[6:7]
	v_mul_f64 v[8:9], v[16:17], v[6:7]
	v_fma_f64 v[12:13], v[18:19], v[6:7], -v[10:11]
	v_add_f64 v[20:21], v[8:9], v[12:13]
	v_add_f64 v[22:23], v[10:11], v[20:21]
	s_mov_b32 s4, 0
	v_ldexp_f64 v[24:25], v[22:23], -2
	s_mov_b32 s5, 0x7ff00000
	v_fract_f64_e32 v[26:27], v[24:25]
	v_cmp_neq_f64_e64 vcc, |v[24:25]|, s[4:5]
	v_cndmask_b32_e32 v25, 0, v27, vcc
	v_cndmask_b32_e32 v24, 0, v26, vcc
	v_add_f64 v[26:27], v[20:21], -v[8:9]
	v_add_f64 v[12:13], v[12:13], -v[26:27]
	;; [unrolled: 1-line block ×4, first 2 shown]
	v_add_f64 v[12:13], v[12:13], v[26:27]
	v_fma_f64 v[8:9], v[16:17], v[6:7], -v[8:9]
	v_mul_f64 v[26:27], v[14:15], v[6:7]
	v_add_f64 v[30:31], v[26:27], v[8:9]
	v_add_f64 v[32:33], v[30:31], v[12:13]
	v_add_f64 v[10:11], v[22:23], -v[10:11]
	v_add_f64 v[22:23], v[32:33], -v[30:31]
	;; [unrolled: 1-line block ×5, first 2 shown]
	v_add_f64 v[12:13], v[12:13], v[22:23]
	v_add_f64 v[22:23], v[30:31], -v[26:27]
	v_add_f64 v[8:9], v[8:9], -v[22:23]
	;; [unrolled: 1-line block ×5, first 2 shown]
	v_add_f64 v[20:21], v[10:11], v[32:33]
	v_add_f64 v[8:9], v[8:9], v[22:23]
	v_add_f64 v[10:11], v[20:21], -v[10:11]
	v_add_f64 v[8:9], v[8:9], v[12:13]
	v_fma_f64 v[6:7], v[14:15], v[6:7], -v[26:27]
	v_add_f64 v[10:11], v[32:33], -v[10:11]
	v_add_f64 v[6:7], v[6:7], v[8:9]
	v_ldexp_f64 v[8:9], v[24:25], 2
	v_add_f64 v[6:7], v[10:11], v[6:7]
	v_add_f64 v[10:11], v[20:21], v[8:9]
	v_mov_b32_e32 v12, 0x40100000
	v_cmp_gt_f64_e32 vcc, 0, v[10:11]
	v_mov_b32_e32 v28, 0
	v_cndmask_b32_e32 v29, 0, v12, vcc
	v_add_f64 v[8:9], v[8:9], v[28:29]
	v_add_f64 v[10:11], v[20:21], v[8:9]
	v_cvt_i32_f64_e32 v12, v[10:11]
	v_cvt_f64_i32_e32 v[10:11], v12
	v_add_f64 v[8:9], v[8:9], -v[10:11]
	v_add_f64 v[10:11], v[20:21], v[8:9]
	v_add_f64 v[8:9], v[10:11], -v[8:9]
	v_add_f64 v[8:9], v[20:21], -v[8:9]
	v_add_f64 v[6:7], v[6:7], v[8:9]
	v_cmp_le_f64_e32 vcc, 0.5, v[10:11]
	v_mov_b32_e32 v8, 0x3ff00000
	v_cndmask_b32_e32 v29, 0, v8, vcc
	v_add_f64 v[8:9], v[10:11], -v[28:29]
	v_add_f64 v[10:11], v[8:9], v[6:7]
	v_addc_co_u32_e64 v24, s[4:5], 0, v12, vcc
	v_add_f64 v[8:9], v[10:11], -v[8:9]
	s_mov_b32 s13, 0x3ff921fb
	v_add_f64 v[6:7], v[6:7], -v[8:9]
	v_mul_f64 v[8:9], v[10:11], s[12:13]
	s_mov_b32 s4, 0x33145c07
	v_fma_f64 v[12:13], v[10:11], s[12:13], -v[8:9]
	s_mov_b32 s5, 0x3c91a626
	v_fmac_f64_e32 v[12:13], s[4:5], v[10:11]
	v_fmac_f64_e32 v[12:13], s[12:13], v[6:7]
	v_add_f64 v[6:7], v[8:9], v[12:13]
	v_add_f64 v[8:9], v[6:7], -v[8:9]
	v_add_f64 v[8:9], v[12:13], -v[8:9]
	s_andn2_saveexec_b64 s[4:5], s[14:15]
	s_cbranch_execz .LBB8_120
	s_branch .LBB8_119
.LBB8_91:
	s_andn2_saveexec_b64 s[10:11], s[10:11]
	s_cbranch_execz .LBB8_35
.LBB8_92:
	v_mov_b32_e32 v2, 22
	v_cmp_gt_i16_sdwa s[6:7], v3, v2 src0_sel:BYTE_0 src1_sel:DWORD
	s_mov_b64 s[14:15], s[8:9]
                                        ; implicit-def: $vgpr4_vgpr5
	s_and_saveexec_b64 s[16:17], s[6:7]
	s_xor_b64 s[6:7], exec, s[16:17]
	s_cbranch_execz .LBB8_108
; %bb.93:
	v_mov_b32_e32 v2, 23
	v_cmp_gt_i16_sdwa s[14:15], v3, v2 src0_sel:BYTE_0 src1_sel:DWORD
                                        ; implicit-def: $vgpr4_vgpr5
	s_and_saveexec_b64 s[16:17], s[14:15]
	s_xor_b64 s[14:15], exec, s[16:17]
	s_cbranch_execz .LBB8_105
; %bb.94:
	v_mov_b32_e32 v2, 24
	v_cmp_gt_i16_sdwa s[16:17], v3, v2 src0_sel:BYTE_0 src1_sel:DWORD
                                        ; implicit-def: $vgpr4_vgpr5
	s_and_saveexec_b64 s[18:19], s[16:17]
	s_xor_b64 s[16:17], exec, s[18:19]
	s_cbranch_execz .LBB8_102
; %bb.95:
	flat_load_ubyte v2, v[0:1]
	s_movk_i32 s18, 0x7f
                                        ; implicit-def: $sgpr20_sgpr21
	s_waitcnt vmcnt(0) lgkmcnt(0)
	v_cmp_lt_i16_e32 vcc, s18, v2
	s_mov_b64 s[18:19], 0
	s_and_saveexec_b64 s[22:23], vcc
	s_xor_b64 s[22:23], exec, s[22:23]
	s_cbranch_execz .LBB8_129
; %bb.96:
	s_movk_i32 s18, 0x80
	v_cmp_eq_u16_e32 vcc, s18, v2
	s_mov_b64 s[24:25], -1
                                        ; implicit-def: $sgpr20_sgpr21
	s_and_saveexec_b64 s[18:19], vcc
; %bb.97:
	s_mov_b32 s21, 0x7ff80000
	s_brev_b32 s20, 4
	s_xor_b64 s[24:25], exec, -1
; %bb.98:
	s_or_b64 exec, exec, s[18:19]
	s_and_b64 s[18:19], s[24:25], exec
	s_or_saveexec_b64 s[22:23], s[22:23]
	v_pk_mov_b32 v[4:5], s[20:21], s[20:21] op_sel:[0,1]
	s_xor_b64 exec, exec, s[22:23]
	s_cbranch_execnz .LBB8_130
.LBB8_99:
	s_or_b64 exec, exec, s[22:23]
	s_and_saveexec_b64 s[20:21], s[18:19]
	s_cbranch_execz .LBB8_101
.LBB8_100:
	v_lshlrev_b32_e32 v3, 24, v2
	v_and_b32_e32 v2, 0xffff, v2
	v_and_b32_e32 v4, 3, v2
	v_ffbh_u32_e32 v6, v4
	v_min_u32_e32 v6, 32, v6
	v_subrev_u32_e32 v7, 29, v6
	v_bfe_u32 v5, v2, 2, 5
	v_lshlrev_b32_e32 v2, v7, v2
	v_sub_u32_e32 v6, 30, v6
	v_and_b32_e32 v2, 3, v2
	v_cmp_eq_u32_e32 vcc, 0, v5
	v_cndmask_b32_e32 v5, v5, v6, vcc
	v_cndmask_b32_e32 v2, v4, v2, vcc
	v_mov_b32_e32 v4, 0x37800000
	v_lshlrev_b32_e32 v2, 21, v2
	v_and_b32_e32 v3, 0x80000000, v3
	v_lshl_add_u32 v4, v5, 23, v4
	v_or3_b32 v2, v3, v4, v2
	v_cvt_f64_f32_e32 v[4:5], v2
.LBB8_101:
	s_or_b64 exec, exec, s[20:21]
.LBB8_102:
	s_andn2_saveexec_b64 s[16:17], s[16:17]
	s_cbranch_execz .LBB8_104
; %bb.103:
	flat_load_ubyte v2, v[0:1]
	s_mov_b32 s18, 0x7f800000
	s_waitcnt vmcnt(0) lgkmcnt(0)
	v_lshlrev_b32_e32 v2, 24, v2
	v_and_b32_e32 v3, 0x7f000000, v2
	v_ffbh_u32_e32 v4, v3
	v_min_u32_e32 v4, 32, v4
	v_sub_u32_e64 v4, v4, 4 clamp
	v_lshlrev_b32_e32 v6, v4, v3
	v_lshlrev_b32_e32 v4, 23, v4
	v_lshrrev_b32_e32 v6, 4, v6
	v_add_u32_e32 v5, 0x1000000, v3
	v_sub_u32_e32 v4, v6, v4
	v_ashrrev_i32_e32 v5, 8, v5
	v_add_u32_e32 v4, 0x3c000000, v4
	v_and_or_b32 v4, v5, s18, v4
	v_cmp_ne_u32_e32 vcc, 0, v3
	v_cndmask_b32_e32 v3, 0, v4, vcc
	s_brev_b32 s18, 1
	v_and_or_b32 v2, v2, s18, v3
	v_cvt_f64_f32_e32 v[4:5], v2
.LBB8_104:
	s_or_b64 exec, exec, s[16:17]
.LBB8_105:
	s_andn2_saveexec_b64 s[14:15], s[14:15]
	s_cbranch_execz .LBB8_107
; %bb.106:
	flat_load_ubyte v2, v[0:1]
	s_movk_i32 s16, 0x7f00
	s_brev_b32 s17, 16
	s_waitcnt vmcnt(0) lgkmcnt(0)
	v_lshlrev_b16_e32 v3, 8, v2
	v_lshlrev_b32_e32 v2, 25, v2
	v_lshrrev_b32_e32 v4, 4, v2
	v_and_or_b32 v5, v3, s16, 0.5
	v_or_b32_e32 v4, 0x70000000, v4
	v_add_f32_e32 v5, -0.5, v5
	v_mul_f32_e32 v4, 0x7800000, v4
	v_cmp_gt_u32_e32 vcc, s17, v2
	v_bfe_i32 v3, v3, 0, 16
	v_cndmask_b32_e32 v2, v4, v5, vcc
	s_brev_b32 s16, 1
	v_and_or_b32 v2, v3, s16, v2
	v_cvt_f64_f32_e32 v[4:5], v2
.LBB8_107:
	s_or_b64 exec, exec, s[14:15]
	s_or_b64 s[14:15], s[8:9], exec
                                        ; implicit-def: $vgpr3
.LBB8_108:
	s_or_saveexec_b64 s[6:7], s[6:7]
	s_mov_b64 s[18:19], 0
	s_mov_b64 s[16:17], s[12:13]
	s_xor_b64 exec, exec, s[6:7]
	s_cbranch_execz .LBB8_116
; %bb.109:
	v_mov_b32_e32 v2, 14
	v_cmp_gt_i16_sdwa s[20:21], v3, v2 src0_sel:BYTE_0 src1_sel:DWORD
	s_mov_b64 s[16:17], s[12:13]
	s_mov_b64 s[18:19], s[14:15]
                                        ; implicit-def: $vgpr4_vgpr5
	s_and_saveexec_b64 s[22:23], s[20:21]
	s_xor_b64 s[20:21], exec, s[22:23]
	s_cbranch_execz .LBB8_113
; %bb.110:
	v_mov_b32_e32 v2, 15
	v_cmp_eq_u16_sdwa s[24:25], v3, v2 src0_sel:BYTE_0 src1_sel:DWORD
	s_mov_b64 s[16:17], -1
	s_mov_b64 s[18:19], s[14:15]
                                        ; implicit-def: $vgpr4_vgpr5
	s_and_saveexec_b64 s[22:23], s[24:25]
	s_cbranch_execz .LBB8_112
; %bb.111:
	flat_load_ushort v2, v[0:1]
	s_or_b64 s[18:19], s[14:15], exec
	s_xor_b64 s[16:17], exec, -1
	s_waitcnt vmcnt(0) lgkmcnt(0)
	v_lshlrev_b32_e32 v2, 16, v2
	v_cvt_f64_f32_e32 v[4:5], v2
.LBB8_112:
	s_or_b64 exec, exec, s[22:23]
	s_andn2_b64 s[22:23], s[14:15], exec
	s_and_b64 s[18:19], s[18:19], exec
	s_or_b64 s[18:19], s[22:23], s[18:19]
	s_andn2_b64 s[22:23], s[12:13], exec
	s_and_b64 s[16:17], s[16:17], exec
	s_or_b64 s[16:17], s[22:23], s[16:17]
                                        ; implicit-def: $vgpr3
.LBB8_113:
	s_or_saveexec_b64 s[20:21], s[20:21]
	s_mov_b64 s[22:23], 0
	s_xor_b64 exec, exec, s[20:21]
; %bb.114:
	v_mov_b32_e32 v2, 11
	v_cmp_ne_u16_sdwa s[24:25], v3, v2 src0_sel:BYTE_0 src1_sel:DWORD
	s_andn2_b64 s[16:17], s[16:17], exec
	s_and_b64 s[24:25], s[24:25], exec
	s_mov_b64 s[22:23], exec
	s_or_b64 s[16:17], s[16:17], s[24:25]
                                        ; implicit-def: $vgpr4_vgpr5
; %bb.115:
	s_or_b64 exec, exec, s[20:21]
	s_andn2_b64 s[14:15], s[14:15], exec
	s_and_b64 s[18:19], s[18:19], exec
	s_andn2_b64 s[20:21], s[12:13], exec
	s_and_b64 s[16:17], s[16:17], exec
	s_or_b64 s[14:15], s[14:15], s[18:19]
	s_and_b64 s[18:19], s[22:23], exec
	s_or_b64 s[16:17], s[20:21], s[16:17]
.LBB8_116:
	s_or_b64 exec, exec, s[6:7]
	s_andn2_b64 s[6:7], s[8:9], exec
	s_and_b64 s[8:9], s[14:15], exec
	s_andn2_b64 s[12:13], s[12:13], exec
	s_and_b64 s[14:15], s[16:17], exec
	s_or_b64 s[8:9], s[6:7], s[8:9]
	s_and_b64 s[6:7], s[18:19], exec
	s_or_b64 s[12:13], s[12:13], s[14:15]
	s_or_b64 exec, exec, s[10:11]
	s_and_saveexec_b64 s[10:11], s[12:13]
	s_cbranch_execz .LBB8_36
.LBB8_117:
	s_trap 2
	; divergent unreachable
	s_andn2_b64 s[6:7], s[6:7], exec
                                        ; implicit-def: $vgpr4_vgpr5
	s_or_b64 exec, exec, s[10:11]
	s_and_saveexec_b64 s[10:11], s[6:7]
	s_xor_b64 s[6:7], exec, s[10:11]
	s_cbranch_execnz .LBB8_37
	s_branch .LBB8_38
.LBB8_118:
	s_andn2_saveexec_b64 s[4:5], s[14:15]
	s_cbranch_execz .LBB8_120
.LBB8_119:
	s_mov_b32 s12, 0x6dc9c883
	s_mov_b32 s13, 0x3fe45f30
	v_mul_f64 v[6:7], |v[0:1]|, s[12:13]
	s_mov_b32 s12, 0x54442d18
	v_rndne_f64_e32 v[10:11], v[6:7]
	s_mov_b32 s13, 0xbff921fb
	v_fma_f64 v[6:7], v[10:11], s[12:13], |v[0:1]|
	s_mov_b32 s13, 0xbc91a626
	s_mov_b32 s12, 0x33145c00
	v_mul_f64 v[12:13], v[10:11], s[12:13]
	v_add_f64 v[22:23], v[6:7], v[12:13]
	v_fma_f64 v[8:9], s[12:13], v[10:11], v[6:7]
	s_mov_b32 s13, 0x3c91a626
	v_add_f64 v[6:7], v[6:7], -v[22:23]
	v_fma_f64 v[20:21], s[12:13], v[10:11], v[12:13]
	v_add_f64 v[6:7], v[6:7], v[12:13]
	v_add_f64 v[12:13], v[22:23], -v[8:9]
	v_add_f64 v[6:7], v[12:13], v[6:7]
	s_mov_b32 s12, 0x252049c0
	v_add_f64 v[12:13], v[6:7], -v[20:21]
	s_mov_b32 s13, 0xb97b839a
	v_fmac_f64_e32 v[12:13], s[12:13], v[10:11]
	v_add_f64 v[6:7], v[8:9], v[12:13]
	v_add_f64 v[8:9], v[6:7], -v[8:9]
	v_add_f64 v[8:9], v[12:13], -v[8:9]
	v_cvt_i32_f64_e32 v24, v[10:11]
.LBB8_120:
	s_or_b64 exec, exec, s[4:5]
                                        ; implicit-def: $vgpr25
                                        ; implicit-def: $vgpr10_vgpr11
                                        ; implicit-def: $vgpr12_vgpr13
	s_and_saveexec_b64 s[4:5], s[10:11]
	s_xor_b64 s[10:11], exec, s[4:5]
	s_cbranch_execz .LBB8_122
; %bb.121:
	s_mov_b32 s4, 0
	s_mov_b32 s5, 0x7b000000
	s_movk_i32 s12, 0xff80
	v_and_b32_e32 v12, 0x7fffffff, v1
	v_ldexp_f64 v[10:11], |v[0:1]|, s12
	v_cmp_ge_f64_e64 vcc, |v[0:1]|, s[4:5]
	v_cndmask_b32_e32 v11, v12, v11, vcc
	v_cndmask_b32_e32 v10, v0, v10, vcc
	v_mul_f64 v[20:21], v[18:19], v[10:11]
	v_mul_f64 v[12:13], v[16:17], v[10:11]
	v_fma_f64 v[18:19], v[18:19], v[10:11], -v[20:21]
	v_add_f64 v[22:23], v[12:13], v[18:19]
	v_add_f64 v[26:27], v[20:21], v[22:23]
	s_mov_b32 s4, 0
	v_ldexp_f64 v[28:29], v[26:27], -2
	s_mov_b32 s5, 0x7ff00000
	v_fract_f64_e32 v[30:31], v[28:29]
	v_cmp_neq_f64_e64 vcc, |v[28:29]|, s[4:5]
	v_cndmask_b32_e32 v29, 0, v31, vcc
	v_cndmask_b32_e32 v28, 0, v30, vcc
	v_add_f64 v[30:31], v[22:23], -v[12:13]
	v_add_f64 v[18:19], v[18:19], -v[30:31]
	;; [unrolled: 1-line block ×4, first 2 shown]
	v_fma_f64 v[12:13], v[16:17], v[10:11], -v[12:13]
	v_mul_f64 v[16:17], v[14:15], v[10:11]
	v_add_f64 v[18:19], v[18:19], v[30:31]
	v_add_f64 v[30:31], v[16:17], v[12:13]
	;; [unrolled: 1-line block ×3, first 2 shown]
	v_add_f64 v[20:21], v[26:27], -v[20:21]
	v_add_f64 v[26:27], v[34:35], -v[30:31]
	;; [unrolled: 1-line block ×5, first 2 shown]
	v_add_f64 v[18:19], v[18:19], v[26:27]
	v_add_f64 v[26:27], v[30:31], -v[16:17]
	v_add_f64 v[12:13], v[12:13], -v[26:27]
	;; [unrolled: 1-line block ×4, first 2 shown]
	v_add_f64 v[12:13], v[12:13], v[26:27]
	v_add_f64 v[20:21], v[22:23], -v[20:21]
	v_add_f64 v[12:13], v[12:13], v[18:19]
	v_fma_f64 v[10:11], v[14:15], v[10:11], -v[16:17]
	v_add_f64 v[22:23], v[20:21], v[34:35]
	v_add_f64 v[10:11], v[10:11], v[12:13]
	v_ldexp_f64 v[12:13], v[28:29], 2
	v_add_f64 v[14:15], v[22:23], v[12:13]
	v_mov_b32_e32 v16, 0x40100000
	v_cmp_gt_f64_e32 vcc, 0, v[14:15]
	v_mov_b32_e32 v32, 0
	v_cndmask_b32_e32 v33, 0, v16, vcc
	v_add_f64 v[12:13], v[12:13], v[32:33]
	v_add_f64 v[14:15], v[22:23], v[12:13]
	v_cvt_i32_f64_e32 v16, v[14:15]
	v_cvt_f64_i32_e32 v[14:15], v16
	v_add_f64 v[12:13], v[12:13], -v[14:15]
	v_add_f64 v[20:21], v[22:23], -v[20:21]
	v_add_f64 v[14:15], v[22:23], v[12:13]
	v_add_f64 v[20:21], v[34:35], -v[20:21]
	v_add_f64 v[12:13], v[14:15], -v[12:13]
	v_add_f64 v[10:11], v[20:21], v[10:11]
	v_add_f64 v[12:13], v[22:23], -v[12:13]
	v_add_f64 v[10:11], v[10:11], v[12:13]
	v_cmp_le_f64_e32 vcc, 0.5, v[14:15]
	v_mov_b32_e32 v12, 0x3ff00000
	v_cndmask_b32_e32 v33, 0, v12, vcc
	v_addc_co_u32_e64 v25, s[4:5], 0, v16, vcc
	v_add_f64 v[12:13], v[14:15], -v[32:33]
	v_add_f64 v[14:15], v[12:13], v[10:11]
	s_mov_b32 s4, 0x54442d18
	v_add_f64 v[12:13], v[14:15], -v[12:13]
	s_mov_b32 s5, 0x3ff921fb
	v_add_f64 v[10:11], v[10:11], -v[12:13]
	v_mul_f64 v[12:13], v[14:15], s[4:5]
	s_mov_b32 s12, 0x33145c07
	v_fma_f64 v[16:17], v[14:15], s[4:5], -v[12:13]
	s_mov_b32 s13, 0x3c91a626
	v_fmac_f64_e32 v[16:17], s[12:13], v[14:15]
	v_fmac_f64_e32 v[16:17], s[4:5], v[10:11]
	v_add_f64 v[10:11], v[12:13], v[16:17]
	v_add_f64 v[12:13], v[10:11], -v[12:13]
	v_add_f64 v[12:13], v[16:17], -v[12:13]
	s_andn2_saveexec_b64 s[4:5], s[10:11]
	s_cbranch_execnz .LBB8_123
	s_branch .LBB8_124
.LBB8_122:
	s_andn2_saveexec_b64 s[4:5], s[10:11]
	s_cbranch_execz .LBB8_124
.LBB8_123:
	s_mov_b32 s10, 0x6dc9c883
	s_mov_b32 s11, 0x3fe45f30
	v_mul_f64 v[10:11], |v[0:1]|, s[10:11]
	s_mov_b32 s10, 0x54442d18
	v_rndne_f64_e32 v[14:15], v[10:11]
	s_mov_b32 s11, 0xbff921fb
	v_fma_f64 v[10:11], v[14:15], s[10:11], |v[0:1]|
	s_mov_b32 s11, 0xbc91a626
	s_mov_b32 s10, 0x33145c00
	v_mul_f64 v[16:17], v[14:15], s[10:11]
	v_add_f64 v[20:21], v[10:11], v[16:17]
	v_fma_f64 v[12:13], s[10:11], v[14:15], v[10:11]
	s_mov_b32 s11, 0x3c91a626
	v_add_f64 v[10:11], v[10:11], -v[20:21]
	v_fma_f64 v[18:19], s[10:11], v[14:15], v[16:17]
	v_add_f64 v[10:11], v[10:11], v[16:17]
	v_add_f64 v[16:17], v[20:21], -v[12:13]
	v_add_f64 v[10:11], v[16:17], v[10:11]
	s_mov_b32 s10, 0x252049c0
	v_add_f64 v[16:17], v[10:11], -v[18:19]
	s_mov_b32 s11, 0xb97b839a
	v_fmac_f64_e32 v[16:17], s[10:11], v[14:15]
	v_add_f64 v[10:11], v[12:13], v[16:17]
	v_add_f64 v[12:13], v[10:11], -v[12:13]
	v_add_f64 v[12:13], v[16:17], -v[12:13]
	v_cvt_i32_f64_e32 v25, v[14:15]
.LBB8_124:
	s_or_b64 exec, exec, s[4:5]
	s_mov_b32 s4, 0
	s_mov_b32 s5, 0x40390000
	v_div_scale_f64 v[14:15], s[10:11], v[4:5], v[4:5], s[4:5]
	v_rcp_f64_e32 v[16:17], v[14:15]
	v_mov_b32_e32 v22, 0x55b218cd
	v_mov_b32_e32 v23, 0xc049b48c
	s_mov_b32 s10, 0x46cc5e42
	v_fma_f64 v[18:19], -v[14:15], v[16:17], 1.0
	v_fmac_f64_e32 v[16:17], v[16:17], v[18:19]
	v_fma_f64 v[18:19], -v[14:15], v[16:17], 1.0
	v_fmac_f64_e32 v[16:17], v[16:17], v[18:19]
	v_div_scale_f64 v[18:19], vcc, s[4:5], v[4:5], s[4:5]
	v_mul_f64 v[20:21], v[18:19], v[16:17]
	v_fma_f64 v[14:15], -v[14:15], v[20:21], v[18:19]
	v_mov_b32_e32 v18, 0xab5454e3
	s_nop 0
	v_div_fmas_f64 v[14:15], v[14:15], v[16:17], v[20:21]
	v_div_fixup_f64 v[14:15], v[14:15], v[4:5], s[4:5]
	v_mov_b32_e32 v4, 0x983b6b27
	v_mov_b32_e32 v5, 0x3f4a1d30
	v_fmac_f64_e32 v[4:5], 0, v[14:15]
	v_mov_b32_e32 v16, 0xb35dd1cf
	v_mov_b32_e32 v17, 0x3fb534b0
	v_fmac_f64_e32 v[16:17], v[14:15], v[4:5]
	;; [unrolled: 3-line block ×7, first 2 shown]
	v_mov_b32_e32 v19, 0x3fb5ebc5
	v_fmac_f64_e32 v[18:19], v[14:15], v[4:5]
	v_mov_b32_e32 v4, 0xc9b3069f
	v_mov_b32_e32 v5, 0x3ff40e72
	v_fmac_f64_e32 v[4:5], v[14:15], v[18:19]
	v_mov_b32_e32 v18, 0xe68162bb
	;; [unrolled: 3-line block ×10, first 2 shown]
	v_mov_b32_e32 v21, 0xc062627a
	v_fmac_f64_e32 v[20:21], v[14:15], v[4:5]
	v_fmac_f64_e32 v[22:23], v[14:15], v[20:21]
	v_mov_b32_e32 v4, 0xd1b9a1dd
	v_mov_b32_e32 v5, 0xc0183358
	;; [unrolled: 1-line block ×4, first 2 shown]
	v_fmac_f64_e32 v[4:5], v[14:15], v[22:23]
	v_fmac_f64_e32 v[20:21], 0, v[14:15]
	v_mov_b32_e32 v22, 0xb1759c7f
	v_mov_b32_e32 v23, 0x408ac370
	v_fmac_f64_e32 v[22:23], v[14:15], v[20:21]
	v_mov_b32_e32 v20, 0xbd748cb5
	v_mov_b32_e32 v21, 0x40ae54cd
	;; [unrolled: 3-line block ×5, first 2 shown]
	v_fma_f64 v[18:19], v[14:15], v[18:19], 1.0
	v_fmac_f64_e32 v[22:23], v[14:15], v[20:21]
	v_fma_f64 v[20:21], v[14:15], v[16:17], 1.0
	v_div_scale_f64 v[26:27], s[4:5], v[18:19], v[18:19], v[20:21]
	v_rcp_f64_e32 v[28:29], v[26:27]
	v_mov_b32_e32 v16, 0x6280a54
	v_mov_b32_e32 v17, 0x406e402f
	v_fmac_f64_e32 v[16:17], v[14:15], v[22:23]
	v_fma_f64 v[14:15], -v[26:27], v[28:29], 1.0
	v_fmac_f64_e32 v[28:29], v[28:29], v[14:15]
	v_fma_f64 v[14:15], -v[26:27], v[28:29], 1.0
	v_fmac_f64_e32 v[28:29], v[28:29], v[14:15]
	v_div_scale_f64 v[14:15], vcc, v[20:21], v[18:19], v[20:21]
	v_mul_f64 v[22:23], v[14:15], v[28:29]
	v_fma_f64 v[14:15], -v[26:27], v[22:23], v[14:15]
	s_mov_b32 s4, 0x9037ab78
	s_nop 0
	v_div_fmas_f64 v[14:15], v[14:15], v[28:29], v[22:23]
	v_mul_f64 v[22:23], v[6:7], v[6:7]
	v_div_fixup_f64 v[14:15], v[14:15], v[18:19], v[20:21]
	v_mul_f64 v[18:19], v[22:23], 0.5
	v_add_f64 v[20:21], -v[18:19], 1.0
	v_add_f64 v[26:27], -v[20:21], 1.0
	s_mov_b32 s5, 0x3e21eeb6
	v_add_f64 v[26:27], v[26:27], -v[18:19]
	s_mov_b32 s11, 0xbda907db
	v_pk_mov_b32 v[18:19], s[4:5], s[4:5] op_sel:[0,1]
	s_mov_b32 s12, 0xa17f65f6
	v_fma_f64 v[30:31], s[10:11], v[22:23], v[18:19]
	s_mov_b32 s13, 0xbe927e4f
	s_mov_b32 s14, 0x19f4ec90
	v_fma_f64 v[30:31], v[22:23], v[30:31], s[12:13]
	s_mov_b32 s15, 0x3efa01a0
	;; [unrolled: 3-line block ×4, first 2 shown]
	v_mul_f64 v[28:29], v[22:23], v[22:23]
	v_fma_f64 v[30:31], v[22:23], v[30:31], s[18:19]
	v_fma_f64 v[26:27], v[6:7], -v[8:9], v[26:27]
	s_mov_b32 s4, 0xb42fdfa7
	v_fmac_f64_e32 v[26:27], v[28:29], v[30:31]
	s_mov_b32 s5, 0xbe5ae600
	s_mov_b32 s20, 0xf9a43bb8
	v_add_f64 v[26:27], v[20:21], v[26:27]
	s_mov_b32 s21, 0x3de5e0b2
	v_pk_mov_b32 v[20:21], s[4:5], s[4:5] op_sel:[0,1]
	s_mov_b32 s22, 0x796cde01
	v_fma_f64 v[28:29], s[20:21], v[22:23], v[20:21]
	s_mov_b32 s23, 0x3ec71de3
	s_mov_b32 s24, 0x19e83e5c
	v_fma_f64 v[28:29], v[22:23], v[28:29], s[22:23]
	s_mov_b32 s25, 0xbf2a01a0
	;; [unrolled: 3-line block ×3, first 2 shown]
	v_fma_f64 v[28:29], v[22:23], v[28:29], s[26:27]
	v_mul_f64 v[30:31], v[6:7], -v[22:23]
	v_mul_f64 v[32:33], v[8:9], 0.5
	v_fmac_f64_e32 v[32:33], v[30:31], v[28:29]
	v_fma_f64 v[8:9], v[22:23], v[32:33], -v[8:9]
	s_mov_b32 s29, 0xbfc55555
	s_mov_b32 s28, s18
	v_fmac_f64_e32 v[8:9], s[28:29], v[30:31]
	v_add_f64 v[6:7], v[6:7], -v[8:9]
	v_and_b32_e32 v8, 1, v24
	v_xor_b32_e32 v7, 0x80000000, v7
	v_cmp_eq_u32_e32 vcc, 0, v8
	v_lshlrev_b32_e32 v8, 30, v24
	s_mov_b32 s30, 0
	v_cndmask_b32_e32 v7, v7, v27, vcc
	v_and_b32_e32 v8, 0x80000000, v8
	s_mov_b32 s31, 0xc0140000
	v_xor_b32_e32 v7, v7, v8
	v_div_scale_f64 v[8:9], s[4:5], v[2:3], v[2:3], s[30:31]
	v_rcp_f64_e32 v[22:23], v[8:9]
	v_cndmask_b32_e32 v6, v6, v26, vcc
	s_movk_i32 vcc_lo, 0x1f8
	v_cmp_class_f64_e64 s[4:5], v[0:1], vcc_lo
	v_fma_f64 v[26:27], -v[8:9], v[22:23], 1.0
	v_fmac_f64_e32 v[22:23], v[22:23], v[26:27]
	v_fma_f64 v[26:27], -v[8:9], v[22:23], 1.0
	v_fmac_f64_e32 v[22:23], v[22:23], v[26:27]
	v_div_scale_f64 v[26:27], vcc, s[30:31], v[2:3], s[30:31]
	v_mul_f64 v[28:29], v[26:27], v[22:23]
	v_fma_f64 v[8:9], -v[8:9], v[28:29], v[26:27]
	v_div_scale_f64 v[26:27], s[34:35], v[16:17], v[16:17], v[4:5]
	v_rcp_f64_e32 v[30:31], v[26:27]
	v_div_fmas_f64 v[8:9], v[8:9], v[22:23], v[28:29]
	v_div_fixup_f64 v[8:9], v[8:9], v[2:3], s[30:31]
	v_and_b32_e32 v0, 1, v25
	v_fma_f64 v[22:23], -v[26:27], v[30:31], 1.0
	v_fmac_f64_e32 v[30:31], v[30:31], v[22:23]
	v_fma_f64 v[22:23], -v[26:27], v[30:31], 1.0
	v_fmac_f64_e32 v[30:31], v[30:31], v[22:23]
	v_div_scale_f64 v[22:23], vcc, v[4:5], v[16:17], v[4:5]
	v_mul_f64 v[28:29], v[22:23], v[30:31]
	v_fma_f64 v[22:23], -v[26:27], v[28:29], v[22:23]
	v_mov_b32_e32 v24, 0x7ff80000
	s_nop 0
	v_div_fmas_f64 v[22:23], v[22:23], v[30:31], v[28:29]
	v_div_fixup_f64 v[4:5], v[22:23], v[16:17], v[4:5]
	v_mul_f64 v[4:5], v[8:9], v[4:5]
	v_mul_f64 v[8:9], v[10:11], v[10:11]
	v_mul_f64 v[16:17], v[8:9], 0.5
	v_fmac_f64_e32 v[18:19], s[10:11], v[8:9]
	v_add_f64 v[22:23], -v[16:17], 1.0
	v_fma_f64 v[18:19], v[8:9], v[18:19], s[12:13]
	v_add_f64 v[26:27], -v[22:23], 1.0
	v_fma_f64 v[18:19], v[8:9], v[18:19], s[14:15]
	v_add_f64 v[16:17], v[26:27], -v[16:17]
	v_fma_f64 v[18:19], v[8:9], v[18:19], s[16:17]
	v_mul_f64 v[26:27], v[8:9], v[8:9]
	v_fma_f64 v[18:19], v[8:9], v[18:19], s[18:19]
	v_fma_f64 v[16:17], v[10:11], -v[12:13], v[16:17]
	v_fmac_f64_e32 v[20:21], s[20:21], v[8:9]
	v_fmac_f64_e32 v[16:17], v[26:27], v[18:19]
	v_fma_f64 v[18:19], v[8:9], v[20:21], s[22:23]
	v_fma_f64 v[18:19], v[8:9], v[18:19], s[24:25]
	v_add_f64 v[16:17], v[22:23], v[16:17]
	v_fma_f64 v[18:19], v[8:9], v[18:19], s[26:27]
	v_mul_f64 v[20:21], v[10:11], -v[8:9]
	v_mul_f64 v[22:23], v[12:13], 0.5
	v_fmac_f64_e32 v[22:23], v[20:21], v[18:19]
	v_fma_f64 v[8:9], v[8:9], v[22:23], -v[12:13]
	v_fmac_f64_e32 v[8:9], s[28:29], v[20:21]
	v_add_f64 v[8:9], v[10:11], -v[8:9]
	v_cmp_eq_u32_e32 vcc, 0, v0
	v_cndmask_b32_e32 v0, v16, v8, vcc
	v_cndmask_b32_e32 v8, v17, v9, vcc
	v_lshlrev_b32_e32 v9, 30, v25
	v_xor_b32_e32 v1, v9, v1
	v_and_b32_e32 v1, 0x80000000, v1
	v_xor_b32_e32 v1, v8, v1
	v_cndmask_b32_e64 v6, 0, v6, s[4:5]
	v_cndmask_b32_e64 v7, v24, v7, s[4:5]
	;; [unrolled: 1-line block ×4, first 2 shown]
	s_mov_b32 s4, 0
	s_brev_b32 s5, 8
	v_cmp_gt_f64_e32 vcc, s[4:5], v[2:3]
	v_mul_f64 v[0:1], v[4:5], v[0:1]
	v_cndmask_b32_e64 v4, 0, 1, vcc
	v_lshlrev_b32_e32 v4, 8, v4
	v_ldexp_f64 v[2:3], v[2:3], v4
	v_rsq_f64_e32 v[4:5], v[2:3]
	v_fmac_f64_e32 v[0:1], v[14:15], v[6:7]
	s_mov_b32 s4, 0x33d43651
	s_mov_b32 s5, 0x3fe98845
	v_mul_f64 v[6:7], v[2:3], v[4:5]
	v_mul_f64 v[4:5], v[4:5], 0.5
	v_fma_f64 v[8:9], -v[4:5], v[6:7], 0.5
	v_fmac_f64_e32 v[6:7], v[6:7], v[8:9]
	v_fma_f64 v[10:11], -v[6:7], v[6:7], v[2:3]
	v_fmac_f64_e32 v[4:5], v[4:5], v[8:9]
	v_fmac_f64_e32 v[6:7], v[10:11], v[4:5]
	v_fma_f64 v[8:9], -v[6:7], v[6:7], v[2:3]
	v_fmac_f64_e32 v[6:7], v[8:9], v[4:5]
	v_mov_b32_e32 v4, 0xffffff80
	v_cndmask_b32_e32 v4, 0, v4, vcc
	v_ldexp_f64 v[4:5], v[6:7], v4
	v_mov_b32_e32 v6, 0x260
	v_cmp_class_f64_e32 vcc, v[2:3], v6
	v_mul_f64 v[0:1], v[0:1], s[4:5]
	v_cndmask_b32_e32 v3, v5, v3, vcc
	v_cndmask_b32_e32 v2, v4, v2, vcc
	v_div_scale_f64 v[4:5], s[4:5], v[2:3], v[2:3], v[0:1]
	v_rcp_f64_e32 v[6:7], v[4:5]
	v_fma_f64 v[8:9], -v[4:5], v[6:7], 1.0
	v_fmac_f64_e32 v[6:7], v[6:7], v[8:9]
	v_fma_f64 v[8:9], -v[4:5], v[6:7], 1.0
	v_fmac_f64_e32 v[6:7], v[6:7], v[8:9]
	v_div_scale_f64 v[8:9], vcc, v[0:1], v[2:3], v[0:1]
	v_mul_f64 v[10:11], v[8:9], v[6:7]
	v_fma_f64 v[4:5], -v[4:5], v[10:11], v[8:9]
	s_nop 1
	v_div_fmas_f64 v[4:5], v[4:5], v[6:7], v[10:11]
	v_div_fixup_f64 v[0:1], v[4:5], v[2:3], v[0:1]
.LBB8_125:
	s_or_b64 exec, exec, s[8:9]
.LBB8_126:
	s_or_b64 exec, exec, s[6:7]
	v_readlane_b32 s30, v36, 2
	v_readlane_b32 s31, v36, 3
	;; [unrolled: 1-line block ×4, first 2 shown]
	s_xor_saveexec_b64 s[4:5], -1
	buffer_load_dword v36, off, s[0:3], s32 ; 4-byte Folded Reload
	s_mov_b64 exec, s[4:5]
	s_waitcnt vmcnt(0) lgkmcnt(0)
	s_setpc_b64 s[30:31]
.LBB8_127:
	s_or_saveexec_b64 s[22:23], s[22:23]
	v_pk_mov_b32 v[4:5], s[20:21], s[20:21] op_sel:[0,1]
	s_xor_b64 exec, exec, s[22:23]
	s_cbranch_execz .LBB8_30
.LBB8_128:
	v_cmp_ne_u16_e32 vcc, 0, v2
	s_andn2_b64 s[18:19], s[18:19], exec
	s_and_b64 s[20:21], vcc, exec
	v_pk_mov_b32 v[4:5], 0, 0
	s_or_b64 s[18:19], s[18:19], s[20:21]
	s_or_b64 exec, exec, s[22:23]
	s_and_saveexec_b64 s[20:21], s[18:19]
	s_cbranch_execnz .LBB8_31
	s_branch .LBB8_32
.LBB8_129:
	s_or_saveexec_b64 s[22:23], s[22:23]
	v_pk_mov_b32 v[4:5], s[20:21], s[20:21] op_sel:[0,1]
	s_xor_b64 exec, exec, s[22:23]
	s_cbranch_execz .LBB8_99
.LBB8_130:
	v_cmp_ne_u16_e32 vcc, 0, v2
	s_andn2_b64 s[18:19], s[18:19], exec
	s_and_b64 s[20:21], vcc, exec
	v_pk_mov_b32 v[4:5], 0, 0
	s_or_b64 s[18:19], s[18:19], s[20:21]
	s_or_b64 exec, exec, s[22:23]
	s_and_saveexec_b64 s[20:21], s[18:19]
	s_cbranch_execnz .LBB8_100
	s_branch .LBB8_101
.Lfunc_end8:
	.size	_ZN2at6native6invokeIZZZNS0_12_GLOBAL__N_121bessel_j0_kernel_cudaERNS_18TensorIteratorBaseEENKUlvE_clEvENKUlvE_clEvEUldE_i15function_traitsIS7_EEENT1_11result_typeERKT_PrKPcPKT0_PKN3c1010ScalarTypeEi, .Lfunc_end8-_ZN2at6native6invokeIZZZNS0_12_GLOBAL__N_121bessel_j0_kernel_cudaERNS_18TensorIteratorBaseEENKUlvE_clEvENKUlvE_clEvEUldE_i15function_traitsIS7_EEENT1_11result_typeERKT_PrKPcPKT0_PKN3c1010ScalarTypeEi
                                        ; -- End function
	.section	.AMDGPU.csdata,"",@progbits
; Function info:
; codeLenInByte = 6616
; NumSgprs: 40
; NumVgprs: 37
; NumAgprs: 0
; TotalNumVgprs: 37
; ScratchSize: 8
; MemoryBound: 1
	.section	.text._ZN2at6native32elementwise_kernel_manual_unrollILi128ELi4EZNS0_15gpu_kernel_implIZZZNS0_12_GLOBAL__N_121bessel_j0_kernel_cudaERNS_18TensorIteratorBaseEENKUlvE_clEvENKUlvE_clEvEUldE_EEvS5_RKT_EUlibE_EEviT1_,"axG",@progbits,_ZN2at6native32elementwise_kernel_manual_unrollILi128ELi4EZNS0_15gpu_kernel_implIZZZNS0_12_GLOBAL__N_121bessel_j0_kernel_cudaERNS_18TensorIteratorBaseEENKUlvE_clEvENKUlvE_clEvEUldE_EEvS5_RKT_EUlibE_EEviT1_,comdat
	.globl	_ZN2at6native32elementwise_kernel_manual_unrollILi128ELi4EZNS0_15gpu_kernel_implIZZZNS0_12_GLOBAL__N_121bessel_j0_kernel_cudaERNS_18TensorIteratorBaseEENKUlvE_clEvENKUlvE_clEvEUldE_EEvS5_RKT_EUlibE_EEviT1_ ; -- Begin function _ZN2at6native32elementwise_kernel_manual_unrollILi128ELi4EZNS0_15gpu_kernel_implIZZZNS0_12_GLOBAL__N_121bessel_j0_kernel_cudaERNS_18TensorIteratorBaseEENKUlvE_clEvENKUlvE_clEvEUldE_EEvS5_RKT_EUlibE_EEviT1_
	.p2align	8
	.type	_ZN2at6native32elementwise_kernel_manual_unrollILi128ELi4EZNS0_15gpu_kernel_implIZZZNS0_12_GLOBAL__N_121bessel_j0_kernel_cudaERNS_18TensorIteratorBaseEENKUlvE_clEvENKUlvE_clEvEUldE_EEvS5_RKT_EUlibE_EEviT1_,@function
_ZN2at6native32elementwise_kernel_manual_unrollILi128ELi4EZNS0_15gpu_kernel_implIZZZNS0_12_GLOBAL__N_121bessel_j0_kernel_cudaERNS_18TensorIteratorBaseEENKUlvE_clEvENKUlvE_clEvEUldE_EEvS5_RKT_EUlibE_EEviT1_: ; @_ZN2at6native32elementwise_kernel_manual_unrollILi128ELi4EZNS0_15gpu_kernel_implIZZZNS0_12_GLOBAL__N_121bessel_j0_kernel_cudaERNS_18TensorIteratorBaseEENKUlvE_clEvENKUlvE_clEvEUldE_EEvS5_RKT_EUlibE_EEviT1_
; %bb.0:
	v_mov_b32_e32 v1, 0
	global_load_ushort v46, v1, s[4:5] offset:33
	s_load_dwordx4 s[36:39], s[4:5], 0x8
	s_load_dwordx2 s[40:41], s[4:5], 0x18
	s_load_dword s33, s[4:5], 0x0
	s_add_u32 flat_scratch_lo, s6, s9
	s_addc_u32 flat_scratch_hi, s7, 0
	v_lshl_or_b32 v37, s8, 9, v0
	s_add_u32 s0, s0, s9
	v_or_b32_e32 v45, 0x180, v37
	s_addc_u32 s1, s1, 0
	s_mov_b64 s[42:43], 0
	s_waitcnt lgkmcnt(0)
	v_cmp_le_i32_e32 vcc, s33, v45
	s_mov_b64 s[46:47], 0
	s_mov_b32 s32, 0
	s_waitcnt vmcnt(0)
	v_lshrrev_b16_e32 v44, 8, v46
	s_and_saveexec_b64 s[4:5], vcc
	s_xor_b64 s[44:45], exec, s[4:5]
	s_cbranch_execz .LBB9_508
; %bb.1:
	v_cmp_gt_i32_e32 vcc, s33, v37
	s_mov_b64 s[4:5], -1
	s_mov_b64 s[52:53], 0
	s_and_saveexec_b64 s[48:49], vcc
                                        ; implicit-def: $vgpr2_vgpr3
	s_cbranch_execz .LBB9_124
; %bb.2:
	v_mov_b32_e32 v0, s38
	v_mov_b32_e32 v1, s39
	;; [unrolled: 1-line block ×5, first 2 shown]
	s_getpc_b64 s[4:5]
	s_add_u32 s4, s4, _ZN2at6native6invokeIZZZNS0_12_GLOBAL__N_121bessel_j0_kernel_cudaERNS_18TensorIteratorBaseEENKUlvE_clEvENKUlvE_clEvEUldE_i15function_traitsIS7_EEENT1_11result_typeERKT_PrKPcPKT0_PKN3c1010ScalarTypeEi@rel32@lo+4
	s_addc_u32 s5, s5, _ZN2at6native6invokeIZZZNS0_12_GLOBAL__N_121bessel_j0_kernel_cudaERNS_18TensorIteratorBaseEENKUlvE_clEvENKUlvE_clEvEUldE_i15function_traitsIS7_EEENT1_11result_typeERKT_PrKPcPKT0_PKN3c1010ScalarTypeEi@rel32@hi+12
	s_swappc_b64 s[30:31], s[4:5]
	v_mul_lo_u32 v2, v37, s40
	v_ashrrev_i32_e32 v3, 31, v2
	v_mov_b32_e32 v5, s37
	v_add_co_u32_e32 v4, vcc, s36, v2
	v_mov_b32_e32 v2, 11
	v_addc_co_u32_e32 v5, vcc, v5, v3, vcc
	v_cmp_lt_i16_sdwa s[4:5], v46, v2 src0_sel:BYTE_0 src1_sel:DWORD
	s_and_b64 vcc, exec, s[4:5]
	s_cbranch_vccnz .LBB9_9
; %bb.3:
	v_mov_b32_e32 v2, 25
	v_cmp_gt_i16_sdwa s[4:5], v46, v2 src0_sel:BYTE_0 src1_sel:DWORD
	s_and_b64 vcc, exec, s[4:5]
	s_cbranch_vccz .LBB9_12
; %bb.4:
	v_mov_b32_e32 v2, 28
	v_cmp_gt_i16_sdwa s[4:5], v46, v2 src0_sel:BYTE_0 src1_sel:DWORD
	s_and_b64 vcc, exec, s[4:5]
	s_cbranch_vccz .LBB9_13
	;; [unrolled: 5-line block ×4, first 2 shown]
; %bb.7:
	v_mov_b32_e32 v2, 46
	v_cmp_eq_u16_sdwa s[6:7], v46, v2 src0_sel:BYTE_0 src1_sel:DWORD
	s_mov_b64 s[8:9], 0
	s_mov_b64 s[4:5], -1
	s_and_b64 vcc, exec, s[6:7]
	s_mov_b64 s[6:7], 0
	s_cbranch_vccz .LBB9_16
; %bb.8:
	v_cvt_f32_f64_e32 v2, v[0:1]
	v_bfe_u32 v3, v2, 16, 1
	s_movk_i32 s4, 0x7fff
	v_add3_u32 v3, v2, v3, s4
	v_lshrrev_b32_e32 v3, 16, v3
	v_mov_b32_e32 v6, 0x7fc0
	v_cmp_o_f32_e32 vcc, v2, v2
	v_cndmask_b32_e32 v2, v6, v3, vcc
	global_store_dword v[4:5], v2, off
	s_mov_b64 s[6:7], -1
	s_mov_b64 s[4:5], 0
	s_branch .LBB9_16
.LBB9_9:
	s_mov_b64 s[4:5], 0
	s_mov_b64 s[6:7], 0
	s_cbranch_execnz .LBB9_84
.LBB9_10:
	s_andn2_b64 vcc, exec, s[6:7]
	s_cbranch_vccnz .LBB9_122
.LBB9_11:
	v_add_u32_e32 v37, 0x80, v37
	s_mov_b64 s[6:7], -1
	s_branch .LBB9_123
.LBB9_12:
	s_mov_b64 s[4:5], 0
	s_mov_b64 s[6:7], 0
	s_cbranch_execnz .LBB9_43
	s_branch .LBB9_83
.LBB9_13:
	s_mov_b64 s[8:9], -1
	s_mov_b64 s[4:5], 0
	s_mov_b64 s[6:7], 0
	s_branch .LBB9_26
.LBB9_14:
	s_mov_b64 s[8:9], -1
	s_mov_b64 s[4:5], 0
	s_mov_b64 s[6:7], 0
	s_branch .LBB9_22
.LBB9_15:
	s_mov_b64 s[8:9], -1
	s_mov_b64 s[4:5], 0
	s_mov_b64 s[6:7], 0
.LBB9_16:
	s_and_b64 vcc, exec, s[8:9]
	s_cbranch_vccz .LBB9_21
; %bb.17:
	v_mov_b32_e32 v2, 44
	v_cmp_eq_u16_sdwa s[8:9], v46, v2 src0_sel:BYTE_0 src1_sel:DWORD
	s_mov_b64 s[4:5], -1
	s_and_b64 vcc, exec, s[8:9]
	s_cbranch_vccz .LBB9_21
; %bb.18:
	v_cvt_f32_f64_e32 v2, v[0:1]
	v_bfe_u32 v3, v2, 23, 8
	s_movk_i32 s4, 0xff
	v_cmp_ne_u32_e32 vcc, s4, v3
	v_mov_b32_e32 v6, 0xff
	s_and_saveexec_b64 s[6:7], vcc
; %bb.19:
	s_mov_b32 s4, 0x3fffff
	v_lshrrev_b32_e32 v6, 23, v2
	v_and_b32_e32 v7, 0x400000, v2
	v_and_or_b32 v2, v2, s4, v3
	v_cmp_ne_u32_e32 vcc, 0, v7
	v_cmp_ne_u32_e64 s[4:5], 0, v2
	s_and_b64 s[4:5], vcc, s[4:5]
	v_cndmask_b32_e64 v2, 0, 1, s[4:5]
	v_add_u32_e32 v6, v6, v2
; %bb.20:
	s_or_b64 exec, exec, s[6:7]
	s_mov_b64 s[6:7], -1
	s_mov_b64 s[4:5], 0
	global_store_byte v[4:5], v6, off
.LBB9_21:
	s_mov_b64 s[8:9], 0
.LBB9_22:
	s_and_b64 vcc, exec, s[8:9]
	s_cbranch_vccz .LBB9_25
; %bb.23:
	v_mov_b32_e32 v2, 29
	v_cmp_eq_u16_sdwa s[8:9], v46, v2 src0_sel:BYTE_0 src1_sel:DWORD
	s_mov_b64 s[4:5], -1
	s_and_b64 vcc, exec, s[8:9]
	s_cbranch_vccz .LBB9_25
; %bb.24:
	v_trunc_f64_e32 v[2:3], v[0:1]
	s_movk_i32 s4, 0xffe0
	v_ldexp_f64 v[6:7], v[2:3], s4
	v_floor_f64_e32 v[6:7], v[6:7]
	v_fmac_f64_e32 v[2:3], 0xc1f00000, v[6:7]
	v_cvt_u32_f64_e32 v9, v[6:7]
	v_cvt_u32_f64_e32 v8, v[2:3]
	global_store_dwordx2 v[4:5], v[8:9], off
	s_mov_b64 s[6:7], -1
	s_mov_b64 s[4:5], 0
.LBB9_25:
	s_mov_b64 s[8:9], 0
.LBB9_26:
	s_and_b64 vcc, exec, s[8:9]
	s_cbranch_vccz .LBB9_42
; %bb.27:
	v_mov_b32_e32 v2, 27
	v_cmp_lt_i16_sdwa s[8:9], v46, v2 src0_sel:BYTE_0 src1_sel:DWORD
	s_mov_b64 s[6:7], -1
	s_and_b64 vcc, exec, s[8:9]
	s_cbranch_vccnz .LBB9_33
; %bb.28:
	v_cmp_gt_i16_sdwa s[8:9], v46, v2 src0_sel:BYTE_0 src1_sel:DWORD
	s_and_b64 vcc, exec, s[8:9]
	v_cvt_u32_f64_e32 v2, v[0:1]
	s_cbranch_vccz .LBB9_30
; %bb.29:
	s_mov_b64 s[6:7], 0
	global_store_dword v[4:5], v2, off
.LBB9_30:
	s_andn2_b64 vcc, exec, s[6:7]
	s_cbranch_vccnz .LBB9_32
; %bb.31:
	global_store_short v[4:5], v2, off
.LBB9_32:
	s_mov_b64 s[6:7], 0
.LBB9_33:
	s_andn2_b64 vcc, exec, s[6:7]
	s_cbranch_vccnz .LBB9_41
; %bb.34:
	v_cvt_f32_f64_e32 v2, v[0:1]
	v_and_b32_e32 v3, 0x7fffffff, v2
	s_mov_b32 s6, 0x43800000
	v_cmp_gt_u32_e32 vcc, s6, v3
	v_mov_b32_e32 v6, 0x80
	s_and_saveexec_b64 s[6:7], vcc
	s_cbranch_execz .LBB9_40
; %bb.35:
	s_mov_b32 s8, 0x3bffffff
	v_cmp_lt_u32_e32 vcc, s8, v3
	s_mov_b64 s[8:9], 0
                                        ; implicit-def: $vgpr3
	s_and_saveexec_b64 s[10:11], vcc
	s_xor_b64 s[10:11], exec, s[10:11]
	s_cbranch_execz .LBB9_141
; %bb.36:
	v_bfe_u32 v3, v2, 20, 1
	s_mov_b32 s12, 0x487ffff
	v_add3_u32 v3, v2, v3, s12
	s_mov_b64 s[8:9], exec
	v_lshrrev_b32_e32 v3, 20, v3
	s_or_saveexec_b64 s[10:11], s[10:11]
                                        ; implicit-def: $sgpr12
	s_xor_b64 exec, exec, s[10:11]
	s_cbranch_execnz .LBB9_142
.LBB9_37:
	s_or_b64 exec, exec, s[10:11]
	v_mov_b32_e32 v6, s12
	s_and_saveexec_b64 s[10:11], s[8:9]
.LBB9_38:
	v_lshrrev_b32_e32 v2, 24, v2
	s_movk_i32 s8, 0x80
	v_and_or_b32 v6, v2, s8, v3
.LBB9_39:
	s_or_b64 exec, exec, s[10:11]
.LBB9_40:
	s_or_b64 exec, exec, s[6:7]
	global_store_byte v[4:5], v6, off
.LBB9_41:
	s_mov_b64 s[6:7], -1
.LBB9_42:
	s_branch .LBB9_83
.LBB9_43:
	v_mov_b32_e32 v2, 22
	v_cmp_gt_i16_sdwa s[10:11], v46, v2 src0_sel:BYTE_0 src1_sel:DWORD
	s_mov_b64 s[8:9], -1
	s_and_b64 vcc, exec, s[10:11]
	s_cbranch_vccz .LBB9_75
; %bb.44:
	v_mov_b32_e32 v2, 24
	v_cmp_lt_i16_sdwa s[8:9], v46, v2 src0_sel:BYTE_0 src1_sel:DWORD
	s_mov_b64 s[6:7], -1
	s_and_b64 vcc, exec, s[8:9]
	s_cbranch_vccnz .LBB9_64
; %bb.45:
	v_cmp_gt_i16_sdwa s[8:9], v46, v2 src0_sel:BYTE_0 src1_sel:DWORD
	s_and_b64 vcc, exec, s[8:9]
	s_cbranch_vccz .LBB9_53
; %bb.46:
	v_cvt_f32_f64_e32 v2, v[0:1]
	v_and_b32_e32 v3, 0x7fffffff, v2
	s_mov_b32 s6, 0x47800000
	v_cmp_gt_u32_e32 vcc, s6, v3
	v_mov_b32_e32 v6, 0x80
	s_and_saveexec_b64 s[6:7], vcc
	s_cbranch_execz .LBB9_52
; %bb.47:
	s_mov_b32 s8, 0x37ffffff
	v_cmp_lt_u32_e32 vcc, s8, v3
	s_mov_b64 s[8:9], 0
                                        ; implicit-def: $vgpr3
	s_and_saveexec_b64 s[10:11], vcc
	s_xor_b64 s[10:11], exec, s[10:11]
	s_cbranch_execz .LBB9_144
; %bb.48:
	v_bfe_u32 v3, v2, 21, 1
	s_mov_b32 s12, 0x88fffff
	v_add3_u32 v3, v2, v3, s12
	s_mov_b64 s[8:9], exec
	v_lshrrev_b32_e32 v3, 21, v3
	s_or_saveexec_b64 s[10:11], s[10:11]
                                        ; implicit-def: $sgpr12
	s_xor_b64 exec, exec, s[10:11]
	s_cbranch_execnz .LBB9_145
.LBB9_49:
	s_or_b64 exec, exec, s[10:11]
	v_mov_b32_e32 v6, s12
	s_and_saveexec_b64 s[10:11], s[8:9]
.LBB9_50:
	v_lshrrev_b32_e32 v2, 24, v2
	s_movk_i32 s8, 0x80
	v_and_or_b32 v6, v2, s8, v3
.LBB9_51:
	s_or_b64 exec, exec, s[10:11]
.LBB9_52:
	s_or_b64 exec, exec, s[6:7]
	s_mov_b64 s[6:7], 0
	global_store_byte v[4:5], v6, off
.LBB9_53:
	s_and_b64 vcc, exec, s[6:7]
	s_cbranch_vccz .LBB9_63
; %bb.54:
	v_cvt_f32_f64_e32 v2, v[0:1]
	v_and_b32_e32 v6, 0x7fffffff, v2
	s_mov_b32 s6, 0x43f00000
	v_cmp_gt_u32_e32 vcc, s6, v6
                                        ; implicit-def: $vgpr3
	s_and_saveexec_b64 s[6:7], vcc
	s_xor_b64 s[6:7], exec, s[6:7]
	s_cbranch_execz .LBB9_60
; %bb.55:
	s_mov_b32 s8, 0x3c7fffff
	v_cmp_lt_u32_e32 vcc, s8, v6
                                        ; implicit-def: $vgpr3
	s_and_saveexec_b64 s[8:9], vcc
	s_xor_b64 s[8:9], exec, s[8:9]
; %bb.56:
	v_bfe_u32 v3, v2, 20, 1
	s_mov_b32 s10, 0x407ffff
	v_add3_u32 v3, v2, v3, s10
	v_lshrrev_b32_e32 v6, 20, v3
	v_and_b32_e32 v3, 0xff00000, v3
	s_mov_b32 s10, 0x7f00000
	v_mov_b32_e32 v7, 0x7e
	v_cmp_ne_u32_e32 vcc, s10, v3
	v_cndmask_b32_e32 v3, v7, v6, vcc
; %bb.57:
	s_andn2_saveexec_b64 s[8:9], s[8:9]
; %bb.58:
	s_mov_b32 s10, 0x46800000
	v_add_f32_e64 v3, |v2|, s10
; %bb.59:
	s_or_b64 exec, exec, s[8:9]
                                        ; implicit-def: $vgpr6
.LBB9_60:
	s_andn2_saveexec_b64 s[6:7], s[6:7]
; %bb.61:
	s_mov_b32 s8, 0x7f800000
	v_mov_b32_e32 v3, 0x7e
	v_mov_b32_e32 v7, 0x7f
	v_cmp_lt_u32_e32 vcc, s8, v6
	v_cndmask_b32_e32 v3, v3, v7, vcc
; %bb.62:
	s_or_b64 exec, exec, s[6:7]
	v_lshrrev_b32_e32 v2, 24, v2
	s_movk_i32 s6, 0x80
	v_and_or_b32 v2, v2, s6, v3
	global_store_byte v[4:5], v2, off
.LBB9_63:
	s_mov_b64 s[6:7], 0
.LBB9_64:
	s_andn2_b64 vcc, exec, s[6:7]
	s_cbranch_vccnz .LBB9_74
; %bb.65:
	v_cvt_f32_f64_e32 v2, v[0:1]
	v_and_b32_e32 v6, 0x7fffffff, v2
	s_mov_b32 s6, 0x47800000
	v_cmp_gt_u32_e32 vcc, s6, v6
                                        ; implicit-def: $vgpr3
	s_and_saveexec_b64 s[6:7], vcc
	s_xor_b64 s[6:7], exec, s[6:7]
	s_cbranch_execz .LBB9_71
; %bb.66:
	s_mov_b32 s8, 0x387fffff
	v_cmp_lt_u32_e32 vcc, s8, v6
                                        ; implicit-def: $vgpr3
	s_and_saveexec_b64 s[8:9], vcc
	s_xor_b64 s[8:9], exec, s[8:9]
; %bb.67:
	v_bfe_u32 v3, v2, 21, 1
	s_mov_b32 s10, 0x80fffff
	v_add3_u32 v3, v2, v3, s10
	v_lshrrev_b32_e32 v3, 21, v3
; %bb.68:
	s_andn2_saveexec_b64 s[8:9], s[8:9]
; %bb.69:
	s_mov_b32 s10, 0x43000000
	v_add_f32_e64 v3, |v2|, s10
; %bb.70:
	s_or_b64 exec, exec, s[8:9]
                                        ; implicit-def: $vgpr6
.LBB9_71:
	s_andn2_saveexec_b64 s[6:7], s[6:7]
; %bb.72:
	s_mov_b32 s8, 0x7f800000
	v_mov_b32_e32 v3, 0x7c
	v_mov_b32_e32 v7, 0x7f
	v_cmp_lt_u32_e32 vcc, s8, v6
	v_cndmask_b32_e32 v3, v3, v7, vcc
; %bb.73:
	s_or_b64 exec, exec, s[6:7]
	v_lshrrev_b32_e32 v2, 24, v2
	s_movk_i32 s6, 0x80
	v_and_or_b32 v2, v2, s6, v3
	global_store_byte v[4:5], v2, off
.LBB9_74:
	s_mov_b64 s[8:9], 0
	s_mov_b64 s[6:7], -1
.LBB9_75:
	s_andn2_b64 vcc, exec, s[8:9]
	s_cbranch_vccnz .LBB9_83
; %bb.76:
	v_mov_b32_e32 v2, 14
	v_cmp_gt_i16_sdwa s[10:11], v46, v2 src0_sel:BYTE_0 src1_sel:DWORD
	s_mov_b64 s[8:9], -1
	s_and_b64 vcc, exec, s[10:11]
	s_cbranch_vccz .LBB9_80
; %bb.77:
	v_mov_b32_e32 v2, 15
	v_cmp_eq_u16_sdwa s[8:9], v46, v2 src0_sel:BYTE_0 src1_sel:DWORD
	s_mov_b64 s[4:5], -1
	s_and_b64 vcc, exec, s[8:9]
	s_cbranch_vccz .LBB9_79
; %bb.78:
	v_cvt_f32_f64_e32 v2, v[0:1]
	v_bfe_u32 v3, v2, 16, 1
	s_movk_i32 s4, 0x7fff
	v_add3_u32 v3, v2, v3, s4
	v_lshrrev_b32_e32 v3, 16, v3
	v_mov_b32_e32 v6, 0x7fc0
	v_cmp_o_f32_e32 vcc, v2, v2
	v_cndmask_b32_e32 v2, v6, v3, vcc
	global_store_short v[4:5], v2, off
	s_mov_b64 s[6:7], -1
	s_mov_b64 s[4:5], 0
.LBB9_79:
	s_mov_b64 s[8:9], 0
.LBB9_80:
	s_and_b64 vcc, exec, s[8:9]
	s_cbranch_vccz .LBB9_83
; %bb.81:
	v_mov_b32_e32 v2, 11
	v_cmp_eq_u16_sdwa s[8:9], v46, v2 src0_sel:BYTE_0 src1_sel:DWORD
	s_mov_b64 s[4:5], -1
	s_and_b64 vcc, exec, s[8:9]
	s_cbranch_vccz .LBB9_83
; %bb.82:
	v_cmp_neq_f64_e32 vcc, 0, v[0:1]
	s_mov_b64 s[4:5], 0
	v_cndmask_b32_e64 v2, 0, 1, vcc
	s_mov_b64 s[6:7], -1
	global_store_byte v[4:5], v2, off
.LBB9_83:
	s_branch .LBB9_10
.LBB9_84:
	v_mov_b32_e32 v2, 5
	v_cmp_lt_i16_sdwa s[8:9], v46, v2 src0_sel:BYTE_0 src1_sel:DWORD
	s_mov_b64 s[6:7], -1
	s_and_b64 vcc, exec, s[8:9]
	s_cbranch_vccnz .LBB9_105
; %bb.85:
	v_mov_b32_e32 v2, 8
	v_cmp_lt_i16_sdwa s[8:9], v46, v2 src0_sel:BYTE_0 src1_sel:DWORD
	s_and_b64 vcc, exec, s[8:9]
	s_cbranch_vccnz .LBB9_95
; %bb.86:
	v_mov_b32_e32 v2, 9
	v_cmp_lt_i16_sdwa s[8:9], v46, v2 src0_sel:BYTE_0 src1_sel:DWORD
	s_and_b64 vcc, exec, s[8:9]
	s_cbranch_vccnz .LBB9_92
; %bb.87:
	v_cmp_gt_i16_sdwa s[8:9], v46, v2 src0_sel:BYTE_0 src1_sel:DWORD
	s_and_b64 vcc, exec, s[8:9]
	s_cbranch_vccz .LBB9_89
; %bb.88:
	v_mov_b32_e32 v2, 0
	v_mov_b32_e32 v3, v2
	global_store_dwordx4 v[4:5], v[0:3], off
	s_mov_b64 s[6:7], 0
.LBB9_89:
	s_andn2_b64 vcc, exec, s[6:7]
	s_cbranch_vccnz .LBB9_91
; %bb.90:
	v_cvt_f32_f64_e32 v2, v[0:1]
	v_mov_b32_e32 v3, 0
	global_store_dwordx2 v[4:5], v[2:3], off
.LBB9_91:
	s_mov_b64 s[6:7], 0
.LBB9_92:
	s_andn2_b64 vcc, exec, s[6:7]
	s_cbranch_vccnz .LBB9_94
; %bb.93:
	v_cvt_f32_f64_e32 v2, v[0:1]
	v_cvt_f16_f32_e32 v2, v2
	global_store_dword v[4:5], v2, off
.LBB9_94:
	s_mov_b64 s[6:7], 0
.LBB9_95:
	s_andn2_b64 vcc, exec, s[6:7]
	s_cbranch_vccnz .LBB9_104
; %bb.96:
	v_mov_b32_e32 v2, 6
	v_cmp_lt_i16_sdwa s[8:9], v46, v2 src0_sel:BYTE_0 src1_sel:DWORD
	s_mov_b64 s[6:7], -1
	s_and_b64 vcc, exec, s[8:9]
	s_cbranch_vccnz .LBB9_102
; %bb.97:
	v_cmp_gt_i16_sdwa s[8:9], v46, v2 src0_sel:BYTE_0 src1_sel:DWORD
	s_and_b64 vcc, exec, s[8:9]
	s_cbranch_vccz .LBB9_99
; %bb.98:
	global_store_dwordx2 v[4:5], v[0:1], off
	s_mov_b64 s[6:7], 0
.LBB9_99:
	s_andn2_b64 vcc, exec, s[6:7]
	s_cbranch_vccnz .LBB9_101
; %bb.100:
	v_cvt_f32_f64_e32 v2, v[0:1]
	global_store_dword v[4:5], v2, off
.LBB9_101:
	s_mov_b64 s[6:7], 0
.LBB9_102:
	s_andn2_b64 vcc, exec, s[6:7]
	s_cbranch_vccnz .LBB9_104
; %bb.103:
	v_cvt_f32_f64_e32 v2, v[0:1]
	v_cvt_f16_f32_e32 v2, v2
	global_store_short v[4:5], v2, off
.LBB9_104:
	s_mov_b64 s[6:7], 0
.LBB9_105:
	s_andn2_b64 vcc, exec, s[6:7]
	s_cbranch_vccnz .LBB9_121
; %bb.106:
	v_mov_b32_e32 v2, 2
	v_cmp_lt_i16_sdwa s[8:9], v46, v2 src0_sel:BYTE_0 src1_sel:DWORD
	s_mov_b64 s[6:7], -1
	s_and_b64 vcc, exec, s[8:9]
	s_cbranch_vccnz .LBB9_116
; %bb.107:
	v_mov_b32_e32 v2, 3
	v_cmp_lt_i16_sdwa s[8:9], v46, v2 src0_sel:BYTE_0 src1_sel:DWORD
	s_and_b64 vcc, exec, s[8:9]
	s_cbranch_vccnz .LBB9_113
; %bb.108:
	v_cmp_gt_i16_sdwa s[8:9], v46, v2 src0_sel:BYTE_0 src1_sel:DWORD
	s_and_b64 vcc, exec, s[8:9]
	s_cbranch_vccz .LBB9_110
; %bb.109:
	v_trunc_f64_e32 v[2:3], v[0:1]
	s_movk_i32 s6, 0xffe0
	v_ldexp_f64 v[6:7], v[2:3], s6
	v_floor_f64_e32 v[6:7], v[6:7]
	v_fmac_f64_e32 v[2:3], 0xc1f00000, v[6:7]
	v_cvt_i32_f64_e32 v9, v[6:7]
	v_cvt_u32_f64_e32 v8, v[2:3]
	global_store_dwordx2 v[4:5], v[8:9], off
	s_mov_b64 s[6:7], 0
.LBB9_110:
	s_andn2_b64 vcc, exec, s[6:7]
	s_cbranch_vccnz .LBB9_112
; %bb.111:
	v_cvt_i32_f64_e32 v2, v[0:1]
	global_store_dword v[4:5], v2, off
.LBB9_112:
	s_mov_b64 s[6:7], 0
.LBB9_113:
	s_andn2_b64 vcc, exec, s[6:7]
	s_cbranch_vccnz .LBB9_115
; %bb.114:
	v_cvt_i32_f64_e32 v2, v[0:1]
	global_store_short v[4:5], v2, off
.LBB9_115:
	s_mov_b64 s[6:7], 0
.LBB9_116:
	s_andn2_b64 vcc, exec, s[6:7]
	s_cbranch_vccnz .LBB9_121
; %bb.117:
	v_mov_b32_e32 v2, 0
	v_cmp_gt_i16_sdwa s[8:9], v46, v2 src0_sel:BYTE_0 src1_sel:DWORD
	s_mov_b64 s[6:7], -1
	s_and_b64 vcc, exec, s[8:9]
	s_cbranch_vccz .LBB9_119
; %bb.118:
	v_cvt_i32_f64_e32 v2, v[0:1]
	global_store_byte v[4:5], v2, off
	s_mov_b64 s[6:7], 0
.LBB9_119:
	s_andn2_b64 vcc, exec, s[6:7]
	s_cbranch_vccnz .LBB9_121
; %bb.120:
	v_trunc_f64_e32 v[0:1], v[0:1]
	s_movk_i32 s6, 0xffe0
	v_ldexp_f64 v[2:3], v[0:1], s6
	v_floor_f64_e32 v[2:3], v[2:3]
	v_fmac_f64_e32 v[0:1], 0xc1f00000, v[2:3]
	v_cvt_u32_f64_e32 v0, v[0:1]
	global_store_byte v[4:5], v0, off
.LBB9_121:
	s_branch .LBB9_11
.LBB9_122:
	s_mov_b64 s[6:7], 0
                                        ; implicit-def: $vgpr37
.LBB9_123:
	s_and_b64 s[46:47], s[4:5], exec
	s_orn2_b64 s[4:5], s[6:7], exec
.LBB9_124:
	s_or_b64 exec, exec, s[48:49]
	s_mov_b64 s[6:7], 0
                                        ; implicit-def: $vgpr6
                                        ; implicit-def: $vgpr4_vgpr5
                                        ; implicit-def: $vgpr0_vgpr1
	s_and_saveexec_b64 s[48:49], s[4:5]
	s_cbranch_execz .LBB9_133
; %bb.125:
	v_cmp_gt_i32_e32 vcc, s33, v37
	s_mov_b64 s[8:9], -1
	s_mov_b64 s[50:51], s[46:47]
	s_and_saveexec_b64 s[52:53], vcc
	s_cbranch_execz .LBB9_256
; %bb.126:
	v_mov_b32_e32 v0, s38
	v_mov_b32_e32 v1, s39
	;; [unrolled: 1-line block ×5, first 2 shown]
	s_getpc_b64 s[4:5]
	s_add_u32 s4, s4, _ZN2at6native6invokeIZZZNS0_12_GLOBAL__N_121bessel_j0_kernel_cudaERNS_18TensorIteratorBaseEENKUlvE_clEvENKUlvE_clEvEUldE_i15function_traitsIS7_EEENT1_11result_typeERKT_PrKPcPKT0_PKN3c1010ScalarTypeEi@rel32@lo+4
	s_addc_u32 s5, s5, _ZN2at6native6invokeIZZZNS0_12_GLOBAL__N_121bessel_j0_kernel_cudaERNS_18TensorIteratorBaseEENKUlvE_clEvENKUlvE_clEvEUldE_i15function_traitsIS7_EEENT1_11result_typeERKT_PrKPcPKT0_PKN3c1010ScalarTypeEi@rel32@hi+12
	s_swappc_b64 s[30:31], s[4:5]
	v_mul_lo_u32 v2, v37, s40
	v_ashrrev_i32_e32 v3, 31, v2
	v_mov_b32_e32 v5, s37
	v_add_co_u32_e32 v4, vcc, s36, v2
	v_mov_b32_e32 v2, 11
	v_addc_co_u32_e32 v5, vcc, v5, v3, vcc
	v_cmp_lt_i16_sdwa s[4:5], v46, v2 src0_sel:BYTE_0 src1_sel:DWORD
	s_and_b64 vcc, exec, s[4:5]
	s_cbranch_vccnz .LBB9_136
; %bb.127:
	v_mov_b32_e32 v2, 25
	v_cmp_gt_i16_sdwa s[4:5], v46, v2 src0_sel:BYTE_0 src1_sel:DWORD
	s_and_b64 vcc, exec, s[4:5]
	s_cbranch_vccz .LBB9_139
; %bb.128:
	v_mov_b32_e32 v2, 28
	v_cmp_gt_i16_sdwa s[4:5], v46, v2 src0_sel:BYTE_0 src1_sel:DWORD
	s_and_b64 vcc, exec, s[4:5]
	s_cbranch_vccz .LBB9_140
	;; [unrolled: 5-line block ×4, first 2 shown]
; %bb.131:
	v_mov_b32_e32 v2, 46
	v_cmp_eq_u16_sdwa s[6:7], v46, v2 src0_sel:BYTE_0 src1_sel:DWORD
	s_mov_b64 s[8:9], 0
	s_mov_b64 s[4:5], -1
	s_and_b64 vcc, exec, s[6:7]
	s_mov_b64 s[6:7], 0
	s_cbranch_vccz .LBB9_147
; %bb.132:
	v_cvt_f32_f64_e32 v2, v[0:1]
	v_bfe_u32 v3, v2, 16, 1
	s_movk_i32 s4, 0x7fff
	v_add3_u32 v3, v2, v3, s4
	v_lshrrev_b32_e32 v3, 16, v3
	v_mov_b32_e32 v6, 0x7fc0
	v_cmp_o_f32_e32 vcc, v2, v2
	v_cndmask_b32_e32 v2, v6, v3, vcc
	global_store_dword v[4:5], v2, off
	s_mov_b64 s[6:7], -1
	s_mov_b64 s[4:5], 0
	s_branch .LBB9_147
.LBB9_133:
	s_or_b64 exec, exec, s[48:49]
	s_mov_b64 s[4:5], 0
	s_and_saveexec_b64 s[8:9], s[46:47]
	s_cbranch_execnz .LBB9_468
.LBB9_134:
	s_or_b64 exec, exec, s[8:9]
	s_and_saveexec_b64 s[8:9], s[52:53]
	s_xor_b64 s[8:9], exec, s[8:9]
	s_cbranch_execz .LBB9_469
.LBB9_135:
	v_cmp_neq_f64_e32 vcc, 0, v[0:1]
	v_cndmask_b32_e64 v2, 0, 1, vcc
	global_store_byte v[4:5], v2, off
	s_or_b64 exec, exec, s[8:9]
	s_and_saveexec_b64 s[8:9], s[6:7]
	s_xor_b64 s[6:7], exec, s[8:9]
	s_cbranch_execz .LBB9_507
	s_branch .LBB9_470
.LBB9_136:
	s_mov_b64 s[6:7], 0
	s_mov_b64 s[4:5], s[46:47]
	s_cbranch_execnz .LBB9_216
.LBB9_137:
	s_andn2_b64 vcc, exec, s[6:7]
	s_cbranch_vccnz .LBB9_254
.LBB9_138:
	v_add_u32_e32 v37, 0x80, v37
	s_mov_b64 s[6:7], -1
	s_branch .LBB9_255
.LBB9_139:
	s_mov_b64 s[8:9], -1
	s_mov_b64 s[6:7], 0
	s_mov_b64 s[4:5], s[46:47]
	s_branch .LBB9_174
.LBB9_140:
	s_mov_b64 s[8:9], -1
	s_mov_b64 s[6:7], 0
	s_mov_b64 s[4:5], s[46:47]
	s_branch .LBB9_157
.LBB9_141:
	s_or_saveexec_b64 s[10:11], s[10:11]
                                        ; implicit-def: $sgpr12
	s_xor_b64 exec, exec, s[10:11]
	s_cbranch_execz .LBB9_37
.LBB9_142:
	s_mov_b32 s12, 0x46000000
	v_add_f32_e64 v3, |v2|, s12
	v_and_b32_e32 v3, 0xff, v3
	v_cmp_ne_u32_e32 vcc, 0, v3
	s_andn2_b64 s[8:9], s[8:9], exec
	s_and_b64 s[14:15], vcc, exec
	s_mov_b32 s12, 0
	s_or_b64 s[8:9], s[8:9], s[14:15]
	s_or_b64 exec, exec, s[10:11]
	v_mov_b32_e32 v6, s12
	s_and_saveexec_b64 s[10:11], s[8:9]
	s_cbranch_execnz .LBB9_38
	s_branch .LBB9_39
.LBB9_143:
	s_mov_b64 s[8:9], -1
	s_mov_b64 s[6:7], 0
	s_mov_b64 s[4:5], s[46:47]
	s_branch .LBB9_153
.LBB9_144:
	s_or_saveexec_b64 s[10:11], s[10:11]
                                        ; implicit-def: $sgpr12
	s_xor_b64 exec, exec, s[10:11]
	s_cbranch_execz .LBB9_49
.LBB9_145:
	s_mov_b32 s12, 0x42800000
	v_add_f32_e64 v3, |v2|, s12
	v_and_b32_e32 v3, 0xff, v3
	v_cmp_ne_u32_e32 vcc, 0, v3
	s_andn2_b64 s[8:9], s[8:9], exec
	s_and_b64 s[14:15], vcc, exec
	s_mov_b32 s12, 0
	s_or_b64 s[8:9], s[8:9], s[14:15]
	s_or_b64 exec, exec, s[10:11]
	v_mov_b32_e32 v6, s12
	s_and_saveexec_b64 s[10:11], s[8:9]
	s_cbranch_execnz .LBB9_50
	s_branch .LBB9_51
.LBB9_146:
	s_mov_b64 s[8:9], -1
	s_mov_b64 s[6:7], 0
	s_mov_b64 s[4:5], s[46:47]
.LBB9_147:
	s_and_b64 vcc, exec, s[8:9]
	s_cbranch_vccz .LBB9_152
; %bb.148:
	v_mov_b32_e32 v2, 44
	v_cmp_eq_u16_sdwa s[8:9], v46, v2 src0_sel:BYTE_0 src1_sel:DWORD
	s_mov_b64 s[4:5], -1
	s_and_b64 vcc, exec, s[8:9]
	s_cbranch_vccz .LBB9_152
; %bb.149:
	v_cvt_f32_f64_e32 v2, v[0:1]
	v_bfe_u32 v3, v2, 23, 8
	s_movk_i32 s4, 0xff
	v_cmp_ne_u32_e32 vcc, s4, v3
	v_mov_b32_e32 v6, 0xff
	s_and_saveexec_b64 s[6:7], vcc
; %bb.150:
	s_mov_b32 s4, 0x3fffff
	v_lshrrev_b32_e32 v6, 23, v2
	v_and_b32_e32 v7, 0x400000, v2
	v_and_or_b32 v2, v2, s4, v3
	v_cmp_ne_u32_e32 vcc, 0, v7
	v_cmp_ne_u32_e64 s[4:5], 0, v2
	s_and_b64 s[4:5], vcc, s[4:5]
	v_cndmask_b32_e64 v2, 0, 1, s[4:5]
	v_add_u32_e32 v6, v6, v2
; %bb.151:
	s_or_b64 exec, exec, s[6:7]
	s_mov_b64 s[6:7], -1
	s_mov_b64 s[4:5], 0
	global_store_byte v[4:5], v6, off
.LBB9_152:
	s_mov_b64 s[8:9], 0
.LBB9_153:
	s_and_b64 vcc, exec, s[8:9]
	s_cbranch_vccz .LBB9_156
; %bb.154:
	v_mov_b32_e32 v2, 29
	v_cmp_eq_u16_sdwa s[8:9], v46, v2 src0_sel:BYTE_0 src1_sel:DWORD
	s_mov_b64 s[4:5], -1
	s_and_b64 vcc, exec, s[8:9]
	s_cbranch_vccz .LBB9_156
; %bb.155:
	v_trunc_f64_e32 v[2:3], v[0:1]
	s_movk_i32 s4, 0xffe0
	v_ldexp_f64 v[6:7], v[2:3], s4
	v_floor_f64_e32 v[6:7], v[6:7]
	v_fmac_f64_e32 v[2:3], 0xc1f00000, v[6:7]
	v_cvt_u32_f64_e32 v9, v[6:7]
	v_cvt_u32_f64_e32 v8, v[2:3]
	global_store_dwordx2 v[4:5], v[8:9], off
	s_mov_b64 s[6:7], -1
	s_mov_b64 s[4:5], 0
.LBB9_156:
	s_mov_b64 s[8:9], 0
.LBB9_157:
	s_and_b64 vcc, exec, s[8:9]
	s_cbranch_vccz .LBB9_173
; %bb.158:
	v_mov_b32_e32 v2, 27
	v_cmp_lt_i16_sdwa s[8:9], v46, v2 src0_sel:BYTE_0 src1_sel:DWORD
	s_mov_b64 s[6:7], -1
	s_and_b64 vcc, exec, s[8:9]
	s_cbranch_vccnz .LBB9_164
; %bb.159:
	v_cmp_gt_i16_sdwa s[8:9], v46, v2 src0_sel:BYTE_0 src1_sel:DWORD
	s_and_b64 vcc, exec, s[8:9]
	v_cvt_u32_f64_e32 v2, v[0:1]
	s_cbranch_vccz .LBB9_161
; %bb.160:
	s_mov_b64 s[6:7], 0
	global_store_dword v[4:5], v2, off
.LBB9_161:
	s_andn2_b64 vcc, exec, s[6:7]
	s_cbranch_vccnz .LBB9_163
; %bb.162:
	global_store_short v[4:5], v2, off
.LBB9_163:
	s_mov_b64 s[6:7], 0
.LBB9_164:
	s_andn2_b64 vcc, exec, s[6:7]
	s_cbranch_vccnz .LBB9_172
; %bb.165:
	v_cvt_f32_f64_e32 v2, v[0:1]
	v_and_b32_e32 v3, 0x7fffffff, v2
	s_mov_b32 s6, 0x43800000
	v_cmp_gt_u32_e32 vcc, s6, v3
	v_mov_b32_e32 v6, 0x80
	s_and_saveexec_b64 s[6:7], vcc
	s_cbranch_execz .LBB9_171
; %bb.166:
	s_mov_b32 s8, 0x3bffffff
	v_cmp_lt_u32_e32 vcc, s8, v3
	s_mov_b64 s[8:9], 0
                                        ; implicit-def: $vgpr3
	s_and_saveexec_b64 s[10:11], vcc
	s_xor_b64 s[10:11], exec, s[10:11]
	s_cbranch_execz .LBB9_268
; %bb.167:
	v_bfe_u32 v3, v2, 20, 1
	s_mov_b32 s12, 0x487ffff
	v_add3_u32 v3, v2, v3, s12
	s_mov_b64 s[8:9], exec
	v_lshrrev_b32_e32 v3, 20, v3
	s_or_saveexec_b64 s[10:11], s[10:11]
                                        ; implicit-def: $sgpr12
	s_xor_b64 exec, exec, s[10:11]
	s_cbranch_execnz .LBB9_269
.LBB9_168:
	s_or_b64 exec, exec, s[10:11]
	v_mov_b32_e32 v6, s12
	s_and_saveexec_b64 s[10:11], s[8:9]
.LBB9_169:
	v_lshrrev_b32_e32 v2, 24, v2
	s_movk_i32 s8, 0x80
	v_and_or_b32 v6, v2, s8, v3
.LBB9_170:
	s_or_b64 exec, exec, s[10:11]
.LBB9_171:
	s_or_b64 exec, exec, s[6:7]
	global_store_byte v[4:5], v6, off
.LBB9_172:
	s_mov_b64 s[6:7], -1
.LBB9_173:
	s_mov_b64 s[8:9], 0
.LBB9_174:
	s_and_b64 vcc, exec, s[8:9]
	s_cbranch_vccz .LBB9_215
; %bb.175:
	v_mov_b32_e32 v2, 22
	v_cmp_gt_i16_sdwa s[10:11], v46, v2 src0_sel:BYTE_0 src1_sel:DWORD
	s_mov_b64 s[8:9], -1
	s_and_b64 vcc, exec, s[10:11]
	s_cbranch_vccz .LBB9_207
; %bb.176:
	v_mov_b32_e32 v2, 24
	v_cmp_lt_i16_sdwa s[8:9], v46, v2 src0_sel:BYTE_0 src1_sel:DWORD
	s_mov_b64 s[6:7], -1
	s_and_b64 vcc, exec, s[8:9]
	s_cbranch_vccnz .LBB9_196
; %bb.177:
	v_cmp_gt_i16_sdwa s[8:9], v46, v2 src0_sel:BYTE_0 src1_sel:DWORD
	s_and_b64 vcc, exec, s[8:9]
	s_cbranch_vccz .LBB9_185
; %bb.178:
	v_cvt_f32_f64_e32 v2, v[0:1]
	v_and_b32_e32 v3, 0x7fffffff, v2
	s_mov_b32 s6, 0x47800000
	v_cmp_gt_u32_e32 vcc, s6, v3
	v_mov_b32_e32 v6, 0x80
	s_and_saveexec_b64 s[6:7], vcc
	s_cbranch_execz .LBB9_184
; %bb.179:
	s_mov_b32 s8, 0x37ffffff
	v_cmp_lt_u32_e32 vcc, s8, v3
	s_mov_b64 s[8:9], 0
                                        ; implicit-def: $vgpr3
	s_and_saveexec_b64 s[10:11], vcc
	s_xor_b64 s[10:11], exec, s[10:11]
	s_cbranch_execz .LBB9_271
; %bb.180:
	v_bfe_u32 v3, v2, 21, 1
	s_mov_b32 s12, 0x88fffff
	v_add3_u32 v3, v2, v3, s12
	s_mov_b64 s[8:9], exec
	v_lshrrev_b32_e32 v3, 21, v3
	s_or_saveexec_b64 s[10:11], s[10:11]
                                        ; implicit-def: $sgpr12
	s_xor_b64 exec, exec, s[10:11]
	s_cbranch_execnz .LBB9_272
.LBB9_181:
	s_or_b64 exec, exec, s[10:11]
	v_mov_b32_e32 v6, s12
	s_and_saveexec_b64 s[10:11], s[8:9]
.LBB9_182:
	v_lshrrev_b32_e32 v2, 24, v2
	s_movk_i32 s8, 0x80
	v_and_or_b32 v6, v2, s8, v3
.LBB9_183:
	s_or_b64 exec, exec, s[10:11]
.LBB9_184:
	s_or_b64 exec, exec, s[6:7]
	s_mov_b64 s[6:7], 0
	global_store_byte v[4:5], v6, off
.LBB9_185:
	s_and_b64 vcc, exec, s[6:7]
	s_cbranch_vccz .LBB9_195
; %bb.186:
	v_cvt_f32_f64_e32 v2, v[0:1]
	v_and_b32_e32 v6, 0x7fffffff, v2
	s_mov_b32 s6, 0x43f00000
	v_cmp_gt_u32_e32 vcc, s6, v6
                                        ; implicit-def: $vgpr3
	s_and_saveexec_b64 s[6:7], vcc
	s_xor_b64 s[6:7], exec, s[6:7]
	s_cbranch_execz .LBB9_192
; %bb.187:
	s_mov_b32 s8, 0x3c7fffff
	v_cmp_lt_u32_e32 vcc, s8, v6
                                        ; implicit-def: $vgpr3
	s_and_saveexec_b64 s[8:9], vcc
	s_xor_b64 s[8:9], exec, s[8:9]
; %bb.188:
	v_bfe_u32 v3, v2, 20, 1
	s_mov_b32 s10, 0x407ffff
	v_add3_u32 v3, v2, v3, s10
	v_lshrrev_b32_e32 v6, 20, v3
	v_and_b32_e32 v3, 0xff00000, v3
	s_mov_b32 s10, 0x7f00000
	v_mov_b32_e32 v7, 0x7e
	v_cmp_ne_u32_e32 vcc, s10, v3
	v_cndmask_b32_e32 v3, v7, v6, vcc
; %bb.189:
	s_andn2_saveexec_b64 s[8:9], s[8:9]
; %bb.190:
	s_mov_b32 s10, 0x46800000
	v_add_f32_e64 v3, |v2|, s10
; %bb.191:
	s_or_b64 exec, exec, s[8:9]
                                        ; implicit-def: $vgpr6
.LBB9_192:
	s_andn2_saveexec_b64 s[6:7], s[6:7]
; %bb.193:
	s_mov_b32 s8, 0x7f800000
	v_mov_b32_e32 v3, 0x7e
	v_mov_b32_e32 v7, 0x7f
	v_cmp_lt_u32_e32 vcc, s8, v6
	v_cndmask_b32_e32 v3, v3, v7, vcc
; %bb.194:
	s_or_b64 exec, exec, s[6:7]
	v_lshrrev_b32_e32 v2, 24, v2
	s_movk_i32 s6, 0x80
	v_and_or_b32 v2, v2, s6, v3
	global_store_byte v[4:5], v2, off
.LBB9_195:
	s_mov_b64 s[6:7], 0
.LBB9_196:
	s_andn2_b64 vcc, exec, s[6:7]
	s_cbranch_vccnz .LBB9_206
; %bb.197:
	v_cvt_f32_f64_e32 v2, v[0:1]
	v_and_b32_e32 v6, 0x7fffffff, v2
	s_mov_b32 s6, 0x47800000
	v_cmp_gt_u32_e32 vcc, s6, v6
                                        ; implicit-def: $vgpr3
	s_and_saveexec_b64 s[6:7], vcc
	s_xor_b64 s[6:7], exec, s[6:7]
	s_cbranch_execz .LBB9_203
; %bb.198:
	s_mov_b32 s8, 0x387fffff
	v_cmp_lt_u32_e32 vcc, s8, v6
                                        ; implicit-def: $vgpr3
	s_and_saveexec_b64 s[8:9], vcc
	s_xor_b64 s[8:9], exec, s[8:9]
; %bb.199:
	v_bfe_u32 v3, v2, 21, 1
	s_mov_b32 s10, 0x80fffff
	v_add3_u32 v3, v2, v3, s10
	v_lshrrev_b32_e32 v3, 21, v3
; %bb.200:
	s_andn2_saveexec_b64 s[8:9], s[8:9]
; %bb.201:
	s_mov_b32 s10, 0x43000000
	v_add_f32_e64 v3, |v2|, s10
; %bb.202:
	s_or_b64 exec, exec, s[8:9]
                                        ; implicit-def: $vgpr6
.LBB9_203:
	s_andn2_saveexec_b64 s[6:7], s[6:7]
; %bb.204:
	s_mov_b32 s8, 0x7f800000
	v_mov_b32_e32 v3, 0x7c
	v_mov_b32_e32 v7, 0x7f
	v_cmp_lt_u32_e32 vcc, s8, v6
	v_cndmask_b32_e32 v3, v3, v7, vcc
; %bb.205:
	s_or_b64 exec, exec, s[6:7]
	v_lshrrev_b32_e32 v2, 24, v2
	s_movk_i32 s6, 0x80
	v_and_or_b32 v2, v2, s6, v3
	global_store_byte v[4:5], v2, off
.LBB9_206:
	s_mov_b64 s[8:9], 0
	s_mov_b64 s[6:7], -1
.LBB9_207:
	s_andn2_b64 vcc, exec, s[8:9]
	s_cbranch_vccnz .LBB9_215
; %bb.208:
	v_mov_b32_e32 v2, 14
	v_cmp_gt_i16_sdwa s[10:11], v46, v2 src0_sel:BYTE_0 src1_sel:DWORD
	s_mov_b64 s[8:9], -1
	s_and_b64 vcc, exec, s[10:11]
	s_cbranch_vccz .LBB9_212
; %bb.209:
	v_mov_b32_e32 v2, 15
	v_cmp_eq_u16_sdwa s[8:9], v46, v2 src0_sel:BYTE_0 src1_sel:DWORD
	s_mov_b64 s[4:5], -1
	s_and_b64 vcc, exec, s[8:9]
	s_cbranch_vccz .LBB9_211
; %bb.210:
	v_cvt_f32_f64_e32 v2, v[0:1]
	v_bfe_u32 v3, v2, 16, 1
	s_movk_i32 s4, 0x7fff
	v_add3_u32 v3, v2, v3, s4
	v_lshrrev_b32_e32 v3, 16, v3
	v_mov_b32_e32 v6, 0x7fc0
	v_cmp_o_f32_e32 vcc, v2, v2
	v_cndmask_b32_e32 v2, v6, v3, vcc
	global_store_short v[4:5], v2, off
	s_mov_b64 s[6:7], -1
	s_mov_b64 s[4:5], 0
.LBB9_211:
	s_mov_b64 s[8:9], 0
.LBB9_212:
	s_and_b64 vcc, exec, s[8:9]
	s_cbranch_vccz .LBB9_215
; %bb.213:
	v_mov_b32_e32 v2, 11
	v_cmp_eq_u16_sdwa s[8:9], v46, v2 src0_sel:BYTE_0 src1_sel:DWORD
	s_mov_b64 s[4:5], -1
	s_and_b64 vcc, exec, s[8:9]
	s_cbranch_vccz .LBB9_215
; %bb.214:
	v_cmp_neq_f64_e32 vcc, 0, v[0:1]
	s_mov_b64 s[4:5], 0
	v_cndmask_b32_e64 v2, 0, 1, vcc
	s_mov_b64 s[6:7], -1
	global_store_byte v[4:5], v2, off
.LBB9_215:
	s_branch .LBB9_137
.LBB9_216:
	v_mov_b32_e32 v2, 5
	v_cmp_lt_i16_sdwa s[8:9], v46, v2 src0_sel:BYTE_0 src1_sel:DWORD
	s_mov_b64 s[6:7], -1
	s_and_b64 vcc, exec, s[8:9]
	s_cbranch_vccnz .LBB9_237
; %bb.217:
	v_mov_b32_e32 v2, 8
	v_cmp_lt_i16_sdwa s[8:9], v46, v2 src0_sel:BYTE_0 src1_sel:DWORD
	s_and_b64 vcc, exec, s[8:9]
	s_cbranch_vccnz .LBB9_227
; %bb.218:
	v_mov_b32_e32 v2, 9
	v_cmp_lt_i16_sdwa s[8:9], v46, v2 src0_sel:BYTE_0 src1_sel:DWORD
	s_and_b64 vcc, exec, s[8:9]
	s_cbranch_vccnz .LBB9_224
; %bb.219:
	v_cmp_gt_i16_sdwa s[8:9], v46, v2 src0_sel:BYTE_0 src1_sel:DWORD
	s_and_b64 vcc, exec, s[8:9]
	s_cbranch_vccz .LBB9_221
; %bb.220:
	v_mov_b32_e32 v2, 0
	v_mov_b32_e32 v3, v2
	s_mov_b64 s[6:7], 0
	global_store_dwordx4 v[4:5], v[0:3], off
.LBB9_221:
	s_andn2_b64 vcc, exec, s[6:7]
	s_cbranch_vccnz .LBB9_223
; %bb.222:
	v_cvt_f32_f64_e32 v2, v[0:1]
	v_mov_b32_e32 v3, 0
	global_store_dwordx2 v[4:5], v[2:3], off
.LBB9_223:
	s_mov_b64 s[6:7], 0
.LBB9_224:
	s_andn2_b64 vcc, exec, s[6:7]
	s_cbranch_vccnz .LBB9_226
; %bb.225:
	v_cvt_f32_f64_e32 v2, v[0:1]
	v_cvt_f16_f32_e32 v2, v2
	global_store_dword v[4:5], v2, off
.LBB9_226:
	s_mov_b64 s[6:7], 0
.LBB9_227:
	s_andn2_b64 vcc, exec, s[6:7]
	s_cbranch_vccnz .LBB9_236
; %bb.228:
	v_mov_b32_e32 v2, 6
	v_cmp_lt_i16_sdwa s[8:9], v46, v2 src0_sel:BYTE_0 src1_sel:DWORD
	s_mov_b64 s[6:7], -1
	s_and_b64 vcc, exec, s[8:9]
	s_cbranch_vccnz .LBB9_234
; %bb.229:
	v_cmp_gt_i16_sdwa s[8:9], v46, v2 src0_sel:BYTE_0 src1_sel:DWORD
	s_and_b64 vcc, exec, s[8:9]
	s_cbranch_vccz .LBB9_231
; %bb.230:
	s_mov_b64 s[6:7], 0
	global_store_dwordx2 v[4:5], v[0:1], off
.LBB9_231:
	s_andn2_b64 vcc, exec, s[6:7]
	s_cbranch_vccnz .LBB9_233
; %bb.232:
	v_cvt_f32_f64_e32 v2, v[0:1]
	global_store_dword v[4:5], v2, off
.LBB9_233:
	s_mov_b64 s[6:7], 0
.LBB9_234:
	s_andn2_b64 vcc, exec, s[6:7]
	s_cbranch_vccnz .LBB9_236
; %bb.235:
	v_cvt_f32_f64_e32 v2, v[0:1]
	v_cvt_f16_f32_e32 v2, v2
	global_store_short v[4:5], v2, off
.LBB9_236:
	s_mov_b64 s[6:7], 0
.LBB9_237:
	s_andn2_b64 vcc, exec, s[6:7]
	s_cbranch_vccnz .LBB9_253
; %bb.238:
	v_mov_b32_e32 v2, 2
	v_cmp_lt_i16_sdwa s[8:9], v46, v2 src0_sel:BYTE_0 src1_sel:DWORD
	s_mov_b64 s[6:7], -1
	s_and_b64 vcc, exec, s[8:9]
	s_cbranch_vccnz .LBB9_248
; %bb.239:
	v_mov_b32_e32 v2, 3
	v_cmp_lt_i16_sdwa s[8:9], v46, v2 src0_sel:BYTE_0 src1_sel:DWORD
	s_and_b64 vcc, exec, s[8:9]
	s_cbranch_vccnz .LBB9_245
; %bb.240:
	v_cmp_gt_i16_sdwa s[8:9], v46, v2 src0_sel:BYTE_0 src1_sel:DWORD
	s_and_b64 vcc, exec, s[8:9]
	s_cbranch_vccz .LBB9_242
; %bb.241:
	v_trunc_f64_e32 v[2:3], v[0:1]
	s_movk_i32 s6, 0xffe0
	v_ldexp_f64 v[6:7], v[2:3], s6
	v_floor_f64_e32 v[6:7], v[6:7]
	v_fmac_f64_e32 v[2:3], 0xc1f00000, v[6:7]
	v_cvt_i32_f64_e32 v9, v[6:7]
	v_cvt_u32_f64_e32 v8, v[2:3]
	s_mov_b64 s[6:7], 0
	global_store_dwordx2 v[4:5], v[8:9], off
.LBB9_242:
	s_andn2_b64 vcc, exec, s[6:7]
	s_cbranch_vccnz .LBB9_244
; %bb.243:
	v_cvt_i32_f64_e32 v2, v[0:1]
	global_store_dword v[4:5], v2, off
.LBB9_244:
	s_mov_b64 s[6:7], 0
.LBB9_245:
	s_andn2_b64 vcc, exec, s[6:7]
	s_cbranch_vccnz .LBB9_247
; %bb.246:
	v_cvt_i32_f64_e32 v2, v[0:1]
	global_store_short v[4:5], v2, off
.LBB9_247:
	s_mov_b64 s[6:7], 0
.LBB9_248:
	s_andn2_b64 vcc, exec, s[6:7]
	s_cbranch_vccnz .LBB9_253
; %bb.249:
	v_mov_b32_e32 v2, 0
	v_cmp_gt_i16_sdwa s[8:9], v46, v2 src0_sel:BYTE_0 src1_sel:DWORD
	s_mov_b64 s[6:7], -1
	s_and_b64 vcc, exec, s[8:9]
	s_cbranch_vccz .LBB9_251
; %bb.250:
	v_cvt_i32_f64_e32 v2, v[0:1]
	s_mov_b64 s[6:7], 0
	global_store_byte v[4:5], v2, off
.LBB9_251:
	s_andn2_b64 vcc, exec, s[6:7]
	s_cbranch_vccnz .LBB9_253
; %bb.252:
	v_trunc_f64_e32 v[0:1], v[0:1]
	s_movk_i32 s6, 0xffe0
	v_ldexp_f64 v[2:3], v[0:1], s6
	v_floor_f64_e32 v[2:3], v[2:3]
	v_fmac_f64_e32 v[0:1], 0xc1f00000, v[2:3]
	v_cvt_u32_f64_e32 v0, v[0:1]
	global_store_byte v[4:5], v0, off
.LBB9_253:
	s_branch .LBB9_138
.LBB9_254:
	s_mov_b64 s[6:7], 0
                                        ; implicit-def: $vgpr37
.LBB9_255:
	s_andn2_b64 s[8:9], s[46:47], exec
	s_and_b64 s[4:5], s[4:5], exec
	s_or_b64 s[50:51], s[8:9], s[4:5]
	s_orn2_b64 s[8:9], s[6:7], exec
.LBB9_256:
	s_or_b64 exec, exec, s[52:53]
	s_mov_b64 s[4:5], 0
	s_mov_b64 s[6:7], 0
                                        ; implicit-def: $vgpr6
                                        ; implicit-def: $vgpr4_vgpr5
                                        ; implicit-def: $vgpr0_vgpr1
	s_and_saveexec_b64 s[52:53], s[8:9]
	s_cbranch_execz .LBB9_467
; %bb.257:
	v_cmp_gt_i32_e32 vcc, s33, v37
	s_mov_b64 s[6:7], -1
	s_mov_b64 s[56:57], s[50:51]
	s_and_saveexec_b64 s[54:55], vcc
	s_cbranch_execz .LBB9_386
; %bb.258:
	v_mov_b32_e32 v0, s38
	v_mov_b32_e32 v1, s39
	;; [unrolled: 1-line block ×5, first 2 shown]
	s_getpc_b64 s[4:5]
	s_add_u32 s4, s4, _ZN2at6native6invokeIZZZNS0_12_GLOBAL__N_121bessel_j0_kernel_cudaERNS_18TensorIteratorBaseEENKUlvE_clEvENKUlvE_clEvEUldE_i15function_traitsIS7_EEENT1_11result_typeERKT_PrKPcPKT0_PKN3c1010ScalarTypeEi@rel32@lo+4
	s_addc_u32 s5, s5, _ZN2at6native6invokeIZZZNS0_12_GLOBAL__N_121bessel_j0_kernel_cudaERNS_18TensorIteratorBaseEENKUlvE_clEvENKUlvE_clEvEUldE_i15function_traitsIS7_EEENT1_11result_typeERKT_PrKPcPKT0_PKN3c1010ScalarTypeEi@rel32@hi+12
	s_swappc_b64 s[30:31], s[4:5]
	v_mul_lo_u32 v2, v37, s40
	v_ashrrev_i32_e32 v3, 31, v2
	v_mov_b32_e32 v5, s37
	v_add_co_u32_e32 v4, vcc, s36, v2
	v_mov_b32_e32 v2, 11
	v_addc_co_u32_e32 v5, vcc, v5, v3, vcc
	v_cmp_lt_i16_sdwa s[4:5], v46, v2 src0_sel:BYTE_0 src1_sel:DWORD
	s_and_b64 vcc, exec, s[4:5]
	s_cbranch_vccnz .LBB9_265
; %bb.259:
	v_mov_b32_e32 v2, 25
	v_cmp_gt_i16_sdwa s[4:5], v46, v2 src0_sel:BYTE_0 src1_sel:DWORD
	s_and_b64 vcc, exec, s[4:5]
	s_cbranch_vccz .LBB9_266
; %bb.260:
	v_mov_b32_e32 v2, 28
	v_cmp_gt_i16_sdwa s[4:5], v46, v2 src0_sel:BYTE_0 src1_sel:DWORD
	s_and_b64 vcc, exec, s[4:5]
	s_cbranch_vccz .LBB9_267
	;; [unrolled: 5-line block ×4, first 2 shown]
; %bb.263:
	v_mov_b32_e32 v2, 46
	v_cmp_eq_u16_sdwa s[6:7], v46, v2 src0_sel:BYTE_0 src1_sel:DWORD
	s_mov_b64 s[8:9], 0
	s_mov_b64 s[4:5], -1
	s_and_b64 vcc, exec, s[6:7]
	s_mov_b64 s[6:7], 0
	s_cbranch_vccz .LBB9_274
; %bb.264:
	v_cvt_f32_f64_e32 v2, v[0:1]
	v_bfe_u32 v3, v2, 16, 1
	s_movk_i32 s4, 0x7fff
	v_add3_u32 v3, v2, v3, s4
	v_lshrrev_b32_e32 v3, 16, v3
	v_mov_b32_e32 v6, 0x7fc0
	v_cmp_o_f32_e32 vcc, v2, v2
	v_cndmask_b32_e32 v2, v6, v3, vcc
	global_store_dword v[4:5], v2, off
	s_mov_b64 s[6:7], -1
	s_mov_b64 s[4:5], 0
	s_branch .LBB9_274
.LBB9_265:
	s_mov_b64 s[8:9], -1
	s_mov_b64 s[6:7], 0
	s_mov_b64 s[4:5], s[50:51]
	s_branch .LBB9_343
.LBB9_266:
	s_mov_b64 s[8:9], -1
	s_mov_b64 s[6:7], 0
	s_mov_b64 s[4:5], s[50:51]
	s_branch .LBB9_301
.LBB9_267:
	s_mov_b64 s[8:9], -1
	s_mov_b64 s[6:7], 0
	s_mov_b64 s[4:5], s[50:51]
	s_branch .LBB9_284
.LBB9_268:
	s_or_saveexec_b64 s[10:11], s[10:11]
                                        ; implicit-def: $sgpr12
	s_xor_b64 exec, exec, s[10:11]
	s_cbranch_execz .LBB9_168
.LBB9_269:
	s_mov_b32 s12, 0x46000000
	v_add_f32_e64 v3, |v2|, s12
	v_and_b32_e32 v3, 0xff, v3
	v_cmp_ne_u32_e32 vcc, 0, v3
	s_andn2_b64 s[8:9], s[8:9], exec
	s_and_b64 s[14:15], vcc, exec
	s_mov_b32 s12, 0
	s_or_b64 s[8:9], s[8:9], s[14:15]
	s_or_b64 exec, exec, s[10:11]
	v_mov_b32_e32 v6, s12
	s_and_saveexec_b64 s[10:11], s[8:9]
	s_cbranch_execnz .LBB9_169
	s_branch .LBB9_170
.LBB9_270:
	s_mov_b64 s[8:9], -1
	s_mov_b64 s[6:7], 0
	s_mov_b64 s[4:5], s[50:51]
	s_branch .LBB9_280
.LBB9_271:
	s_or_saveexec_b64 s[10:11], s[10:11]
                                        ; implicit-def: $sgpr12
	s_xor_b64 exec, exec, s[10:11]
	s_cbranch_execz .LBB9_181
.LBB9_272:
	s_mov_b32 s12, 0x42800000
	v_add_f32_e64 v3, |v2|, s12
	v_and_b32_e32 v3, 0xff, v3
	v_cmp_ne_u32_e32 vcc, 0, v3
	s_andn2_b64 s[8:9], s[8:9], exec
	s_and_b64 s[14:15], vcc, exec
	s_mov_b32 s12, 0
	s_or_b64 s[8:9], s[8:9], s[14:15]
	s_or_b64 exec, exec, s[10:11]
	v_mov_b32_e32 v6, s12
	s_and_saveexec_b64 s[10:11], s[8:9]
	s_cbranch_execnz .LBB9_182
	s_branch .LBB9_183
.LBB9_273:
	s_mov_b64 s[8:9], -1
	s_mov_b64 s[6:7], 0
	s_mov_b64 s[4:5], s[50:51]
.LBB9_274:
	s_and_b64 vcc, exec, s[8:9]
	s_cbranch_vccz .LBB9_279
; %bb.275:
	v_mov_b32_e32 v2, 44
	v_cmp_eq_u16_sdwa s[8:9], v46, v2 src0_sel:BYTE_0 src1_sel:DWORD
	s_mov_b64 s[4:5], -1
	s_and_b64 vcc, exec, s[8:9]
	s_cbranch_vccz .LBB9_279
; %bb.276:
	v_cvt_f32_f64_e32 v2, v[0:1]
	v_bfe_u32 v3, v2, 23, 8
	s_movk_i32 s4, 0xff
	v_cmp_ne_u32_e32 vcc, s4, v3
	v_mov_b32_e32 v6, 0xff
	s_and_saveexec_b64 s[6:7], vcc
; %bb.277:
	s_mov_b32 s4, 0x3fffff
	v_lshrrev_b32_e32 v6, 23, v2
	v_and_b32_e32 v7, 0x400000, v2
	v_and_or_b32 v2, v2, s4, v3
	v_cmp_ne_u32_e32 vcc, 0, v7
	v_cmp_ne_u32_e64 s[4:5], 0, v2
	s_and_b64 s[4:5], vcc, s[4:5]
	v_cndmask_b32_e64 v2, 0, 1, s[4:5]
	v_add_u32_e32 v6, v6, v2
; %bb.278:
	s_or_b64 exec, exec, s[6:7]
	s_mov_b64 s[6:7], -1
	s_mov_b64 s[4:5], 0
	global_store_byte v[4:5], v6, off
.LBB9_279:
	s_mov_b64 s[8:9], 0
.LBB9_280:
	s_and_b64 vcc, exec, s[8:9]
	s_cbranch_vccz .LBB9_283
; %bb.281:
	v_mov_b32_e32 v2, 29
	v_cmp_eq_u16_sdwa s[8:9], v46, v2 src0_sel:BYTE_0 src1_sel:DWORD
	s_mov_b64 s[4:5], -1
	s_and_b64 vcc, exec, s[8:9]
	s_cbranch_vccz .LBB9_283
; %bb.282:
	v_trunc_f64_e32 v[2:3], v[0:1]
	s_movk_i32 s4, 0xffe0
	v_ldexp_f64 v[6:7], v[2:3], s4
	v_floor_f64_e32 v[6:7], v[6:7]
	v_fmac_f64_e32 v[2:3], 0xc1f00000, v[6:7]
	v_cvt_u32_f64_e32 v9, v[6:7]
	v_cvt_u32_f64_e32 v8, v[2:3]
	global_store_dwordx2 v[4:5], v[8:9], off
	s_mov_b64 s[6:7], -1
	s_mov_b64 s[4:5], 0
.LBB9_283:
	s_mov_b64 s[8:9], 0
.LBB9_284:
	s_and_b64 vcc, exec, s[8:9]
	s_cbranch_vccz .LBB9_300
; %bb.285:
	v_mov_b32_e32 v2, 27
	v_cmp_lt_i16_sdwa s[8:9], v46, v2 src0_sel:BYTE_0 src1_sel:DWORD
	s_mov_b64 s[6:7], -1
	s_and_b64 vcc, exec, s[8:9]
	s_cbranch_vccnz .LBB9_291
; %bb.286:
	v_cmp_gt_i16_sdwa s[8:9], v46, v2 src0_sel:BYTE_0 src1_sel:DWORD
	s_and_b64 vcc, exec, s[8:9]
	v_cvt_u32_f64_e32 v2, v[0:1]
	s_cbranch_vccz .LBB9_288
; %bb.287:
	s_mov_b64 s[6:7], 0
	global_store_dword v[4:5], v2, off
.LBB9_288:
	s_andn2_b64 vcc, exec, s[6:7]
	s_cbranch_vccnz .LBB9_290
; %bb.289:
	global_store_short v[4:5], v2, off
.LBB9_290:
	s_mov_b64 s[6:7], 0
.LBB9_291:
	s_andn2_b64 vcc, exec, s[6:7]
	s_cbranch_vccnz .LBB9_299
; %bb.292:
	v_cvt_f32_f64_e32 v2, v[0:1]
	v_and_b32_e32 v3, 0x7fffffff, v2
	s_mov_b32 s6, 0x43800000
	v_cmp_gt_u32_e32 vcc, s6, v3
	v_mov_b32_e32 v6, 0x80
	s_and_saveexec_b64 s[6:7], vcc
	s_cbranch_execz .LBB9_298
; %bb.293:
	s_mov_b32 s8, 0x3bffffff
	v_cmp_lt_u32_e32 vcc, s8, v3
	s_mov_b64 s[8:9], 0
                                        ; implicit-def: $vgpr3
	s_and_saveexec_b64 s[10:11], vcc
	s_xor_b64 s[10:11], exec, s[10:11]
	s_cbranch_execz .LBB9_1005
; %bb.294:
	v_bfe_u32 v3, v2, 20, 1
	s_mov_b32 s12, 0x487ffff
	v_add3_u32 v3, v2, v3, s12
	s_mov_b64 s[8:9], exec
	v_lshrrev_b32_e32 v3, 20, v3
	s_or_saveexec_b64 s[10:11], s[10:11]
                                        ; implicit-def: $sgpr12
	s_xor_b64 exec, exec, s[10:11]
	s_cbranch_execnz .LBB9_1006
.LBB9_295:
	s_or_b64 exec, exec, s[10:11]
	v_mov_b32_e32 v6, s12
	s_and_saveexec_b64 s[10:11], s[8:9]
.LBB9_296:
	v_lshrrev_b32_e32 v2, 24, v2
	s_movk_i32 s8, 0x80
	v_and_or_b32 v6, v2, s8, v3
.LBB9_297:
	s_or_b64 exec, exec, s[10:11]
.LBB9_298:
	s_or_b64 exec, exec, s[6:7]
	global_store_byte v[4:5], v6, off
.LBB9_299:
	s_mov_b64 s[6:7], -1
.LBB9_300:
	s_mov_b64 s[8:9], 0
.LBB9_301:
	s_and_b64 vcc, exec, s[8:9]
	s_cbranch_vccz .LBB9_342
; %bb.302:
	v_mov_b32_e32 v2, 22
	v_cmp_gt_i16_sdwa s[10:11], v46, v2 src0_sel:BYTE_0 src1_sel:DWORD
	s_mov_b64 s[8:9], -1
	s_and_b64 vcc, exec, s[10:11]
	s_cbranch_vccz .LBB9_334
; %bb.303:
	v_mov_b32_e32 v2, 24
	v_cmp_lt_i16_sdwa s[8:9], v46, v2 src0_sel:BYTE_0 src1_sel:DWORD
	s_mov_b64 s[6:7], -1
	s_and_b64 vcc, exec, s[8:9]
	s_cbranch_vccnz .LBB9_323
; %bb.304:
	v_cmp_gt_i16_sdwa s[8:9], v46, v2 src0_sel:BYTE_0 src1_sel:DWORD
	s_and_b64 vcc, exec, s[8:9]
	s_cbranch_vccz .LBB9_312
; %bb.305:
	v_cvt_f32_f64_e32 v2, v[0:1]
	v_and_b32_e32 v3, 0x7fffffff, v2
	s_mov_b32 s6, 0x47800000
	v_cmp_gt_u32_e32 vcc, s6, v3
	v_mov_b32_e32 v6, 0x80
	s_and_saveexec_b64 s[6:7], vcc
	s_cbranch_execz .LBB9_311
; %bb.306:
	s_mov_b32 s8, 0x37ffffff
	v_cmp_lt_u32_e32 vcc, s8, v3
	s_mov_b64 s[8:9], 0
                                        ; implicit-def: $vgpr3
	s_and_saveexec_b64 s[10:11], vcc
	s_xor_b64 s[10:11], exec, s[10:11]
	s_cbranch_execz .LBB9_1012
; %bb.307:
	v_bfe_u32 v3, v2, 21, 1
	s_mov_b32 s12, 0x88fffff
	v_add3_u32 v3, v2, v3, s12
	s_mov_b64 s[8:9], exec
	v_lshrrev_b32_e32 v3, 21, v3
	s_or_saveexec_b64 s[10:11], s[10:11]
                                        ; implicit-def: $sgpr12
	s_xor_b64 exec, exec, s[10:11]
	s_cbranch_execnz .LBB9_1013
.LBB9_308:
	s_or_b64 exec, exec, s[10:11]
	v_mov_b32_e32 v6, s12
	s_and_saveexec_b64 s[10:11], s[8:9]
.LBB9_309:
	v_lshrrev_b32_e32 v2, 24, v2
	s_movk_i32 s8, 0x80
	v_and_or_b32 v6, v2, s8, v3
.LBB9_310:
	s_or_b64 exec, exec, s[10:11]
.LBB9_311:
	s_or_b64 exec, exec, s[6:7]
	s_mov_b64 s[6:7], 0
	global_store_byte v[4:5], v6, off
.LBB9_312:
	s_and_b64 vcc, exec, s[6:7]
	s_cbranch_vccz .LBB9_322
; %bb.313:
	v_cvt_f32_f64_e32 v2, v[0:1]
	v_and_b32_e32 v6, 0x7fffffff, v2
	s_mov_b32 s6, 0x43f00000
	v_cmp_gt_u32_e32 vcc, s6, v6
                                        ; implicit-def: $vgpr3
	s_and_saveexec_b64 s[6:7], vcc
	s_xor_b64 s[6:7], exec, s[6:7]
	s_cbranch_execz .LBB9_319
; %bb.314:
	s_mov_b32 s8, 0x3c7fffff
	v_cmp_lt_u32_e32 vcc, s8, v6
                                        ; implicit-def: $vgpr3
	s_and_saveexec_b64 s[8:9], vcc
	s_xor_b64 s[8:9], exec, s[8:9]
; %bb.315:
	v_bfe_u32 v3, v2, 20, 1
	s_mov_b32 s10, 0x407ffff
	v_add3_u32 v3, v2, v3, s10
	v_lshrrev_b32_e32 v6, 20, v3
	v_and_b32_e32 v3, 0xff00000, v3
	s_mov_b32 s10, 0x7f00000
	v_mov_b32_e32 v7, 0x7e
	v_cmp_ne_u32_e32 vcc, s10, v3
	v_cndmask_b32_e32 v3, v7, v6, vcc
; %bb.316:
	s_andn2_saveexec_b64 s[8:9], s[8:9]
; %bb.317:
	s_mov_b32 s10, 0x46800000
	v_add_f32_e64 v3, |v2|, s10
; %bb.318:
	s_or_b64 exec, exec, s[8:9]
                                        ; implicit-def: $vgpr6
.LBB9_319:
	s_andn2_saveexec_b64 s[6:7], s[6:7]
; %bb.320:
	s_mov_b32 s8, 0x7f800000
	v_mov_b32_e32 v3, 0x7e
	v_mov_b32_e32 v7, 0x7f
	v_cmp_lt_u32_e32 vcc, s8, v6
	v_cndmask_b32_e32 v3, v3, v7, vcc
; %bb.321:
	s_or_b64 exec, exec, s[6:7]
	v_lshrrev_b32_e32 v2, 24, v2
	s_movk_i32 s6, 0x80
	v_and_or_b32 v2, v2, s6, v3
	global_store_byte v[4:5], v2, off
.LBB9_322:
	s_mov_b64 s[6:7], 0
.LBB9_323:
	s_andn2_b64 vcc, exec, s[6:7]
	s_cbranch_vccnz .LBB9_333
; %bb.324:
	v_cvt_f32_f64_e32 v2, v[0:1]
	v_and_b32_e32 v6, 0x7fffffff, v2
	s_mov_b32 s6, 0x47800000
	v_cmp_gt_u32_e32 vcc, s6, v6
                                        ; implicit-def: $vgpr3
	s_and_saveexec_b64 s[6:7], vcc
	s_xor_b64 s[6:7], exec, s[6:7]
	s_cbranch_execz .LBB9_330
; %bb.325:
	s_mov_b32 s8, 0x387fffff
	v_cmp_lt_u32_e32 vcc, s8, v6
                                        ; implicit-def: $vgpr3
	s_and_saveexec_b64 s[8:9], vcc
	s_xor_b64 s[8:9], exec, s[8:9]
; %bb.326:
	v_bfe_u32 v3, v2, 21, 1
	s_mov_b32 s10, 0x80fffff
	v_add3_u32 v3, v2, v3, s10
	v_lshrrev_b32_e32 v3, 21, v3
; %bb.327:
	s_andn2_saveexec_b64 s[8:9], s[8:9]
; %bb.328:
	s_mov_b32 s10, 0x43000000
	v_add_f32_e64 v3, |v2|, s10
; %bb.329:
	s_or_b64 exec, exec, s[8:9]
                                        ; implicit-def: $vgpr6
.LBB9_330:
	s_andn2_saveexec_b64 s[6:7], s[6:7]
; %bb.331:
	s_mov_b32 s8, 0x7f800000
	v_mov_b32_e32 v3, 0x7c
	v_mov_b32_e32 v7, 0x7f
	v_cmp_lt_u32_e32 vcc, s8, v6
	v_cndmask_b32_e32 v3, v3, v7, vcc
; %bb.332:
	s_or_b64 exec, exec, s[6:7]
	v_lshrrev_b32_e32 v2, 24, v2
	s_movk_i32 s6, 0x80
	v_and_or_b32 v2, v2, s6, v3
	global_store_byte v[4:5], v2, off
.LBB9_333:
	s_mov_b64 s[8:9], 0
	s_mov_b64 s[6:7], -1
.LBB9_334:
	s_andn2_b64 vcc, exec, s[8:9]
	s_cbranch_vccnz .LBB9_342
; %bb.335:
	v_mov_b32_e32 v2, 14
	v_cmp_gt_i16_sdwa s[10:11], v46, v2 src0_sel:BYTE_0 src1_sel:DWORD
	s_mov_b64 s[8:9], -1
	s_and_b64 vcc, exec, s[10:11]
	s_cbranch_vccz .LBB9_339
; %bb.336:
	v_mov_b32_e32 v2, 15
	v_cmp_eq_u16_sdwa s[8:9], v46, v2 src0_sel:BYTE_0 src1_sel:DWORD
	s_mov_b64 s[4:5], -1
	s_and_b64 vcc, exec, s[8:9]
	s_cbranch_vccz .LBB9_338
; %bb.337:
	v_cvt_f32_f64_e32 v2, v[0:1]
	v_bfe_u32 v3, v2, 16, 1
	s_movk_i32 s4, 0x7fff
	v_add3_u32 v3, v2, v3, s4
	v_lshrrev_b32_e32 v3, 16, v3
	v_mov_b32_e32 v6, 0x7fc0
	v_cmp_o_f32_e32 vcc, v2, v2
	v_cndmask_b32_e32 v2, v6, v3, vcc
	global_store_short v[4:5], v2, off
	s_mov_b64 s[6:7], -1
	s_mov_b64 s[4:5], 0
.LBB9_338:
	s_mov_b64 s[8:9], 0
.LBB9_339:
	s_and_b64 vcc, exec, s[8:9]
	s_cbranch_vccz .LBB9_342
; %bb.340:
	v_mov_b32_e32 v2, 11
	v_cmp_eq_u16_sdwa s[8:9], v46, v2 src0_sel:BYTE_0 src1_sel:DWORD
	s_mov_b64 s[4:5], -1
	s_and_b64 vcc, exec, s[8:9]
	s_cbranch_vccz .LBB9_342
; %bb.341:
	v_cmp_neq_f64_e32 vcc, 0, v[0:1]
	s_mov_b64 s[4:5], 0
	v_cndmask_b32_e64 v2, 0, 1, vcc
	s_mov_b64 s[6:7], -1
	global_store_byte v[4:5], v2, off
.LBB9_342:
	s_mov_b64 s[8:9], 0
.LBB9_343:
	s_and_b64 vcc, exec, s[8:9]
	s_cbranch_vccz .LBB9_382
; %bb.344:
	v_mov_b32_e32 v2, 5
	v_cmp_lt_i16_sdwa s[8:9], v46, v2 src0_sel:BYTE_0 src1_sel:DWORD
	s_mov_b64 s[6:7], -1
	s_and_b64 vcc, exec, s[8:9]
	s_cbranch_vccnz .LBB9_365
; %bb.345:
	v_mov_b32_e32 v2, 8
	v_cmp_lt_i16_sdwa s[8:9], v46, v2 src0_sel:BYTE_0 src1_sel:DWORD
	s_and_b64 vcc, exec, s[8:9]
	s_cbranch_vccnz .LBB9_355
; %bb.346:
	v_mov_b32_e32 v2, 9
	v_cmp_lt_i16_sdwa s[8:9], v46, v2 src0_sel:BYTE_0 src1_sel:DWORD
	s_and_b64 vcc, exec, s[8:9]
	s_cbranch_vccnz .LBB9_352
; %bb.347:
	v_cmp_gt_i16_sdwa s[8:9], v46, v2 src0_sel:BYTE_0 src1_sel:DWORD
	s_and_b64 vcc, exec, s[8:9]
	s_cbranch_vccz .LBB9_349
; %bb.348:
	v_mov_b32_e32 v2, 0
	v_mov_b32_e32 v3, v2
	s_mov_b64 s[6:7], 0
	global_store_dwordx4 v[4:5], v[0:3], off
.LBB9_349:
	s_andn2_b64 vcc, exec, s[6:7]
	s_cbranch_vccnz .LBB9_351
; %bb.350:
	v_cvt_f32_f64_e32 v2, v[0:1]
	v_mov_b32_e32 v3, 0
	global_store_dwordx2 v[4:5], v[2:3], off
.LBB9_351:
	s_mov_b64 s[6:7], 0
.LBB9_352:
	s_andn2_b64 vcc, exec, s[6:7]
	s_cbranch_vccnz .LBB9_354
; %bb.353:
	v_cvt_f32_f64_e32 v2, v[0:1]
	v_cvt_f16_f32_e32 v2, v2
	global_store_dword v[4:5], v2, off
.LBB9_354:
	s_mov_b64 s[6:7], 0
.LBB9_355:
	s_andn2_b64 vcc, exec, s[6:7]
	s_cbranch_vccnz .LBB9_364
; %bb.356:
	v_mov_b32_e32 v2, 6
	v_cmp_lt_i16_sdwa s[8:9], v46, v2 src0_sel:BYTE_0 src1_sel:DWORD
	s_mov_b64 s[6:7], -1
	s_and_b64 vcc, exec, s[8:9]
	s_cbranch_vccnz .LBB9_362
; %bb.357:
	v_cmp_gt_i16_sdwa s[8:9], v46, v2 src0_sel:BYTE_0 src1_sel:DWORD
	s_and_b64 vcc, exec, s[8:9]
	s_cbranch_vccz .LBB9_359
; %bb.358:
	s_mov_b64 s[6:7], 0
	global_store_dwordx2 v[4:5], v[0:1], off
.LBB9_359:
	s_andn2_b64 vcc, exec, s[6:7]
	s_cbranch_vccnz .LBB9_361
; %bb.360:
	v_cvt_f32_f64_e32 v2, v[0:1]
	global_store_dword v[4:5], v2, off
.LBB9_361:
	s_mov_b64 s[6:7], 0
.LBB9_362:
	s_andn2_b64 vcc, exec, s[6:7]
	s_cbranch_vccnz .LBB9_364
; %bb.363:
	v_cvt_f32_f64_e32 v2, v[0:1]
	v_cvt_f16_f32_e32 v2, v2
	global_store_short v[4:5], v2, off
.LBB9_364:
	s_mov_b64 s[6:7], 0
.LBB9_365:
	s_andn2_b64 vcc, exec, s[6:7]
	s_cbranch_vccnz .LBB9_381
; %bb.366:
	v_mov_b32_e32 v2, 2
	v_cmp_lt_i16_sdwa s[8:9], v46, v2 src0_sel:BYTE_0 src1_sel:DWORD
	s_mov_b64 s[6:7], -1
	s_and_b64 vcc, exec, s[8:9]
	s_cbranch_vccnz .LBB9_376
; %bb.367:
	v_mov_b32_e32 v2, 3
	v_cmp_lt_i16_sdwa s[8:9], v46, v2 src0_sel:BYTE_0 src1_sel:DWORD
	s_and_b64 vcc, exec, s[8:9]
	s_cbranch_vccnz .LBB9_373
; %bb.368:
	v_cmp_gt_i16_sdwa s[8:9], v46, v2 src0_sel:BYTE_0 src1_sel:DWORD
	s_and_b64 vcc, exec, s[8:9]
	s_cbranch_vccz .LBB9_370
; %bb.369:
	v_trunc_f64_e32 v[2:3], v[0:1]
	s_movk_i32 s6, 0xffe0
	v_ldexp_f64 v[6:7], v[2:3], s6
	v_floor_f64_e32 v[6:7], v[6:7]
	v_fmac_f64_e32 v[2:3], 0xc1f00000, v[6:7]
	v_cvt_i32_f64_e32 v9, v[6:7]
	v_cvt_u32_f64_e32 v8, v[2:3]
	s_mov_b64 s[6:7], 0
	global_store_dwordx2 v[4:5], v[8:9], off
.LBB9_370:
	s_andn2_b64 vcc, exec, s[6:7]
	s_cbranch_vccnz .LBB9_372
; %bb.371:
	v_cvt_i32_f64_e32 v2, v[0:1]
	global_store_dword v[4:5], v2, off
.LBB9_372:
	s_mov_b64 s[6:7], 0
.LBB9_373:
	s_andn2_b64 vcc, exec, s[6:7]
	s_cbranch_vccnz .LBB9_375
; %bb.374:
	v_cvt_i32_f64_e32 v2, v[0:1]
	global_store_short v[4:5], v2, off
.LBB9_375:
	s_mov_b64 s[6:7], 0
.LBB9_376:
	s_andn2_b64 vcc, exec, s[6:7]
	s_cbranch_vccnz .LBB9_381
; %bb.377:
	v_mov_b32_e32 v2, 0
	v_cmp_gt_i16_sdwa s[8:9], v46, v2 src0_sel:BYTE_0 src1_sel:DWORD
	s_mov_b64 s[6:7], -1
	s_and_b64 vcc, exec, s[8:9]
	s_cbranch_vccz .LBB9_379
; %bb.378:
	v_cvt_i32_f64_e32 v2, v[0:1]
	s_mov_b64 s[6:7], 0
	global_store_byte v[4:5], v2, off
.LBB9_379:
	s_andn2_b64 vcc, exec, s[6:7]
	s_cbranch_vccnz .LBB9_381
; %bb.380:
	v_trunc_f64_e32 v[0:1], v[0:1]
	s_movk_i32 s6, 0xffe0
	v_ldexp_f64 v[2:3], v[0:1], s6
	v_floor_f64_e32 v[2:3], v[2:3]
	v_fmac_f64_e32 v[0:1], 0xc1f00000, v[2:3]
	v_cvt_u32_f64_e32 v0, v[0:1]
	global_store_byte v[4:5], v0, off
.LBB9_381:
	s_mov_b64 s[6:7], -1
.LBB9_382:
	s_andn2_b64 vcc, exec, s[6:7]
	s_cbranch_vccnz .LBB9_384
; %bb.383:
	v_add_u32_e32 v37, 0x80, v37
	s_mov_b64 s[6:7], -1
	s_branch .LBB9_385
.LBB9_384:
	s_mov_b64 s[6:7], 0
                                        ; implicit-def: $vgpr37
.LBB9_385:
	s_andn2_b64 s[8:9], s[50:51], exec
	s_and_b64 s[4:5], s[4:5], exec
	s_or_b64 s[56:57], s[8:9], s[4:5]
	s_orn2_b64 s[6:7], s[6:7], exec
.LBB9_386:
	s_or_b64 exec, exec, s[54:55]
	s_mov_b64 s[4:5], 0
	s_mov_b64 s[10:11], 0
                                        ; implicit-def: $vgpr6
                                        ; implicit-def: $vgpr4_vgpr5
                                        ; implicit-def: $vgpr0_vgpr1
	s_and_saveexec_b64 s[54:55], s[6:7]
	s_cbranch_execz .LBB9_466
; %bb.387:
	v_cmp_gt_i32_e32 vcc, s33, v37
	s_mov_b64 s[6:7], 0
	s_mov_b64 s[8:9], s[56:57]
                                        ; implicit-def: $vgpr6
                                        ; implicit-def: $vgpr4_vgpr5
                                        ; implicit-def: $vgpr0_vgpr1
	s_and_saveexec_b64 s[58:59], vcc
	s_cbranch_execz .LBB9_465
; %bb.388:
	v_mov_b32_e32 v0, s38
	v_mov_b32_e32 v1, s39
	;; [unrolled: 1-line block ×5, first 2 shown]
	s_getpc_b64 s[4:5]
	s_add_u32 s4, s4, _ZN2at6native6invokeIZZZNS0_12_GLOBAL__N_121bessel_j0_kernel_cudaERNS_18TensorIteratorBaseEENKUlvE_clEvENKUlvE_clEvEUldE_i15function_traitsIS7_EEENT1_11result_typeERKT_PrKPcPKT0_PKN3c1010ScalarTypeEi@rel32@lo+4
	s_addc_u32 s5, s5, _ZN2at6native6invokeIZZZNS0_12_GLOBAL__N_121bessel_j0_kernel_cudaERNS_18TensorIteratorBaseEENKUlvE_clEvENKUlvE_clEvEUldE_i15function_traitsIS7_EEENT1_11result_typeERKT_PrKPcPKT0_PKN3c1010ScalarTypeEi@rel32@hi+12
	s_swappc_b64 s[30:31], s[4:5]
	v_mul_lo_u32 v2, v37, s40
	v_ashrrev_i32_e32 v3, 31, v2
	v_mov_b32_e32 v5, s37
	v_add_co_u32_e32 v4, vcc, s36, v2
	v_addc_co_u32_e32 v5, vcc, v5, v3, vcc
	v_and_b32_e32 v6, 0xff, v46
	v_cmp_gt_i16_e32 vcc, 11, v6
	s_cbranch_vccnz .LBB9_462
; %bb.389:
	v_cmp_lt_i16_e32 vcc, 25, v6
	s_mov_b64 s[8:9], -1
	s_mov_b64 s[4:5], s[56:57]
	s_cbranch_vccz .LBB9_422
; %bb.390:
	v_cmp_lt_i16_e32 vcc, 28, v6
	s_mov_b64 s[6:7], -1
	s_mov_b64 s[4:5], s[56:57]
	s_cbranch_vccz .LBB9_406
; %bb.391:
	v_cmp_lt_i16_e32 vcc, 43, v6
	s_mov_b64 s[4:5], s[56:57]
	s_cbranch_vccz .LBB9_402
; %bb.392:
	v_cmp_lt_i16_e32 vcc, 45, v6
	s_mov_b64 s[4:5], s[56:57]
	s_cbranch_vccz .LBB9_396
; %bb.393:
	v_cmp_eq_u16_e32 vcc, 46, v6
	s_mov_b64 s[4:5], -1
	s_cbranch_vccz .LBB9_395
; %bb.394:
	v_cvt_f32_f64_e32 v2, v[0:1]
	v_bfe_u32 v3, v2, 16, 1
	s_movk_i32 s4, 0x7fff
	v_add3_u32 v3, v2, v3, s4
	v_lshrrev_b32_e32 v3, 16, v3
	v_mov_b32_e32 v7, 0x7fc0
	v_cmp_o_f32_e32 vcc, v2, v2
	v_cndmask_b32_e32 v2, v7, v3, vcc
	global_store_dword v[4:5], v2, off
	s_mov_b64 s[4:5], 0
.LBB9_395:
	s_mov_b64 s[6:7], 0
.LBB9_396:
	s_and_b64 vcc, exec, s[6:7]
	s_cbranch_vccz .LBB9_401
; %bb.397:
	v_cmp_eq_u16_e32 vcc, 44, v6
	s_mov_b64 s[4:5], -1
	s_cbranch_vccz .LBB9_401
; %bb.398:
	v_cvt_f32_f64_e32 v2, v[0:1]
	v_bfe_u32 v3, v2, 23, 8
	s_movk_i32 s4, 0xff
	v_cmp_ne_u32_e32 vcc, s4, v3
	v_mov_b32_e32 v7, 0xff
	s_and_saveexec_b64 s[6:7], vcc
; %bb.399:
	s_mov_b32 s4, 0x3fffff
	v_lshrrev_b32_e32 v7, 23, v2
	v_and_b32_e32 v8, 0x400000, v2
	v_and_or_b32 v2, v2, s4, v3
	v_cmp_ne_u32_e32 vcc, 0, v8
	v_cmp_ne_u32_e64 s[4:5], 0, v2
	s_and_b64 s[4:5], vcc, s[4:5]
	v_cndmask_b32_e64 v2, 0, 1, s[4:5]
	v_add_u32_e32 v7, v7, v2
; %bb.400:
	s_or_b64 exec, exec, s[6:7]
	s_mov_b64 s[4:5], 0
	global_store_byte v[4:5], v7, off
.LBB9_401:
	s_mov_b64 s[6:7], 0
.LBB9_402:
	s_and_b64 vcc, exec, s[6:7]
	s_cbranch_vccz .LBB9_405
; %bb.403:
	v_cmp_eq_u16_e32 vcc, 29, v6
	s_mov_b64 s[4:5], -1
	s_cbranch_vccz .LBB9_405
; %bb.404:
	v_trunc_f64_e32 v[2:3], v[0:1]
	s_movk_i32 s4, 0xffe0
	v_ldexp_f64 v[8:9], v[2:3], s4
	v_floor_f64_e32 v[8:9], v[8:9]
	v_fmac_f64_e32 v[2:3], 0xc1f00000, v[8:9]
	v_cvt_u32_f64_e32 v11, v[8:9]
	v_cvt_u32_f64_e32 v10, v[2:3]
	global_store_dwordx2 v[4:5], v[10:11], off
	s_mov_b64 s[4:5], 0
.LBB9_405:
	s_mov_b64 s[6:7], 0
.LBB9_406:
	s_and_b64 vcc, exec, s[6:7]
	s_cbranch_vccz .LBB9_421
; %bb.407:
	v_cmp_gt_i16_e32 vcc, 27, v6
	s_mov_b64 s[6:7], -1
	s_cbranch_vccnz .LBB9_413
; %bb.408:
	v_cmp_lt_i16_e32 vcc, 27, v6
	v_cvt_u32_f64_e32 v2, v[0:1]
	s_cbranch_vccz .LBB9_410
; %bb.409:
	s_mov_b64 s[6:7], 0
	global_store_dword v[4:5], v2, off
.LBB9_410:
	s_andn2_b64 vcc, exec, s[6:7]
	s_cbranch_vccnz .LBB9_412
; %bb.411:
	global_store_short v[4:5], v2, off
.LBB9_412:
	s_mov_b64 s[6:7], 0
.LBB9_413:
	s_andn2_b64 vcc, exec, s[6:7]
	s_cbranch_vccnz .LBB9_421
; %bb.414:
	v_cvt_f32_f64_e32 v2, v[0:1]
	v_and_b32_e32 v3, 0x7fffffff, v2
	s_mov_b32 s6, 0x43800000
	v_cmp_gt_u32_e32 vcc, s6, v3
	v_mov_b32_e32 v7, 0x80
	s_and_saveexec_b64 s[6:7], vcc
	s_cbranch_execz .LBB9_420
; %bb.415:
	s_mov_b32 s8, 0x3bffffff
	v_cmp_lt_u32_e32 vcc, s8, v3
	s_mov_b64 s[8:9], 0
                                        ; implicit-def: $vgpr3
	s_and_saveexec_b64 s[10:11], vcc
	s_xor_b64 s[10:11], exec, s[10:11]
	s_cbranch_execz .LBB9_1014
; %bb.416:
	v_bfe_u32 v3, v2, 20, 1
	s_mov_b32 s12, 0x487ffff
	v_add3_u32 v3, v2, v3, s12
	s_mov_b64 s[8:9], exec
	v_lshrrev_b32_e32 v3, 20, v3
	s_or_saveexec_b64 s[10:11], s[10:11]
                                        ; implicit-def: $sgpr12
	s_xor_b64 exec, exec, s[10:11]
	s_cbranch_execnz .LBB9_1015
.LBB9_417:
	s_or_b64 exec, exec, s[10:11]
	v_mov_b32_e32 v7, s12
	s_and_saveexec_b64 s[10:11], s[8:9]
.LBB9_418:
	v_lshrrev_b32_e32 v2, 24, v2
	s_movk_i32 s8, 0x80
	v_and_or_b32 v7, v2, s8, v3
.LBB9_419:
	s_or_b64 exec, exec, s[10:11]
.LBB9_420:
	s_or_b64 exec, exec, s[6:7]
	global_store_byte v[4:5], v7, off
.LBB9_421:
	s_mov_b64 s[8:9], 0
.LBB9_422:
	s_mov_b64 s[6:7], 0
	s_and_b64 vcc, exec, s[8:9]
	s_cbranch_vccz .LBB9_463
; %bb.423:
	v_cmp_lt_i16_e32 vcc, 22, v6
	s_mov_b64 s[8:9], -1
	s_cbranch_vccz .LBB9_455
; %bb.424:
	v_cmp_gt_i16_e32 vcc, 24, v6
	s_cbranch_vccnz .LBB9_444
; %bb.425:
	v_cmp_lt_i16_e32 vcc, 24, v6
	s_cbranch_vccz .LBB9_433
; %bb.426:
	v_cvt_f32_f64_e32 v2, v[0:1]
	v_and_b32_e32 v3, 0x7fffffff, v2
	s_mov_b32 s8, 0x47800000
	v_cmp_gt_u32_e32 vcc, s8, v3
	v_mov_b32_e32 v7, 0x80
	s_and_saveexec_b64 s[8:9], vcc
	s_cbranch_execz .LBB9_432
; %bb.427:
	s_mov_b32 s10, 0x37ffffff
	v_cmp_lt_u32_e32 vcc, s10, v3
	s_mov_b64 s[10:11], 0
                                        ; implicit-def: $vgpr3
	s_and_saveexec_b64 s[12:13], vcc
	s_xor_b64 s[12:13], exec, s[12:13]
	s_cbranch_execz .LBB9_1018
; %bb.428:
	v_bfe_u32 v3, v2, 21, 1
	s_mov_b32 s14, 0x88fffff
	v_add3_u32 v3, v2, v3, s14
	s_mov_b64 s[10:11], exec
	v_lshrrev_b32_e32 v3, 21, v3
	s_or_saveexec_b64 s[12:13], s[12:13]
                                        ; implicit-def: $sgpr14
	s_xor_b64 exec, exec, s[12:13]
	s_cbranch_execnz .LBB9_1019
.LBB9_429:
	s_or_b64 exec, exec, s[12:13]
	v_mov_b32_e32 v7, s14
	s_and_saveexec_b64 s[12:13], s[10:11]
.LBB9_430:
	v_lshrrev_b32_e32 v2, 24, v2
	s_movk_i32 s10, 0x80
	v_and_or_b32 v7, v2, s10, v3
.LBB9_431:
	s_or_b64 exec, exec, s[12:13]
.LBB9_432:
	s_or_b64 exec, exec, s[8:9]
	s_mov_b64 s[8:9], 0
	global_store_byte v[4:5], v7, off
.LBB9_433:
	s_and_b64 vcc, exec, s[8:9]
	s_cbranch_vccz .LBB9_443
; %bb.434:
	v_cvt_f32_f64_e32 v2, v[0:1]
	v_and_b32_e32 v7, 0x7fffffff, v2
	s_mov_b32 s8, 0x43f00000
	v_cmp_gt_u32_e32 vcc, s8, v7
                                        ; implicit-def: $vgpr3
	s_and_saveexec_b64 s[8:9], vcc
	s_xor_b64 s[8:9], exec, s[8:9]
	s_cbranch_execz .LBB9_440
; %bb.435:
	s_mov_b32 s10, 0x3c7fffff
	v_cmp_lt_u32_e32 vcc, s10, v7
                                        ; implicit-def: $vgpr3
	s_and_saveexec_b64 s[10:11], vcc
	s_xor_b64 s[10:11], exec, s[10:11]
; %bb.436:
	v_bfe_u32 v3, v2, 20, 1
	s_mov_b32 s12, 0x407ffff
	v_add3_u32 v3, v2, v3, s12
	v_lshrrev_b32_e32 v7, 20, v3
	v_and_b32_e32 v3, 0xff00000, v3
	s_mov_b32 s12, 0x7f00000
	v_mov_b32_e32 v8, 0x7e
	v_cmp_ne_u32_e32 vcc, s12, v3
	v_cndmask_b32_e32 v3, v8, v7, vcc
; %bb.437:
	s_andn2_saveexec_b64 s[10:11], s[10:11]
; %bb.438:
	s_mov_b32 s12, 0x46800000
	v_add_f32_e64 v3, |v2|, s12
; %bb.439:
	s_or_b64 exec, exec, s[10:11]
                                        ; implicit-def: $vgpr7
.LBB9_440:
	s_andn2_saveexec_b64 s[8:9], s[8:9]
; %bb.441:
	s_mov_b32 s10, 0x7f800000
	v_mov_b32_e32 v3, 0x7e
	v_mov_b32_e32 v8, 0x7f
	v_cmp_lt_u32_e32 vcc, s10, v7
	v_cndmask_b32_e32 v3, v3, v8, vcc
; %bb.442:
	s_or_b64 exec, exec, s[8:9]
	v_lshrrev_b32_e32 v2, 24, v2
	s_movk_i32 s8, 0x80
	v_and_or_b32 v2, v2, s8, v3
	global_store_byte v[4:5], v2, off
.LBB9_443:
	s_mov_b64 s[8:9], 0
.LBB9_444:
	s_andn2_b64 vcc, exec, s[8:9]
	s_cbranch_vccnz .LBB9_454
; %bb.445:
	v_cvt_f32_f64_e32 v2, v[0:1]
	v_and_b32_e32 v7, 0x7fffffff, v2
	s_mov_b32 s8, 0x47800000
	v_cmp_gt_u32_e32 vcc, s8, v7
                                        ; implicit-def: $vgpr3
	s_and_saveexec_b64 s[8:9], vcc
	s_xor_b64 s[8:9], exec, s[8:9]
	s_cbranch_execz .LBB9_451
; %bb.446:
	s_mov_b32 s10, 0x387fffff
	v_cmp_lt_u32_e32 vcc, s10, v7
                                        ; implicit-def: $vgpr3
	s_and_saveexec_b64 s[10:11], vcc
	s_xor_b64 s[10:11], exec, s[10:11]
; %bb.447:
	v_bfe_u32 v3, v2, 21, 1
	s_mov_b32 s12, 0x80fffff
	v_add3_u32 v3, v2, v3, s12
	v_lshrrev_b32_e32 v3, 21, v3
; %bb.448:
	s_andn2_saveexec_b64 s[10:11], s[10:11]
; %bb.449:
	s_mov_b32 s12, 0x43000000
	v_add_f32_e64 v3, |v2|, s12
; %bb.450:
	s_or_b64 exec, exec, s[10:11]
                                        ; implicit-def: $vgpr7
.LBB9_451:
	s_andn2_saveexec_b64 s[8:9], s[8:9]
; %bb.452:
	s_mov_b32 s10, 0x7f800000
	v_mov_b32_e32 v3, 0x7c
	v_mov_b32_e32 v8, 0x7f
	v_cmp_lt_u32_e32 vcc, s10, v7
	v_cndmask_b32_e32 v3, v3, v8, vcc
; %bb.453:
	s_or_b64 exec, exec, s[8:9]
	v_lshrrev_b32_e32 v2, 24, v2
	s_movk_i32 s8, 0x80
	v_and_or_b32 v2, v2, s8, v3
	global_store_byte v[4:5], v2, off
.LBB9_454:
	s_mov_b64 s[8:9], 0
.LBB9_455:
	s_andn2_b64 vcc, exec, s[8:9]
	s_mov_b64 s[8:9], 0
	s_cbranch_vccnz .LBB9_464
; %bb.456:
	v_cmp_lt_i16_e32 vcc, 14, v6
	s_mov_b64 s[10:11], -1
	s_cbranch_vccz .LBB9_460
; %bb.457:
	v_cmp_eq_u16_e32 vcc, 15, v6
	s_mov_b64 s[4:5], -1
	s_cbranch_vccz .LBB9_459
; %bb.458:
	v_cvt_f32_f64_e32 v2, v[0:1]
	v_bfe_u32 v3, v2, 16, 1
	s_movk_i32 s4, 0x7fff
	v_add3_u32 v3, v2, v3, s4
	v_lshrrev_b32_e32 v3, 16, v3
	v_mov_b32_e32 v7, 0x7fc0
	v_cmp_o_f32_e32 vcc, v2, v2
	v_cndmask_b32_e32 v2, v7, v3, vcc
	global_store_short v[4:5], v2, off
	s_mov_b64 s[4:5], 0
.LBB9_459:
	s_mov_b64 s[10:11], 0
.LBB9_460:
	s_and_b64 vcc, exec, s[10:11]
	s_cbranch_vccz .LBB9_464
; %bb.461:
	v_cmp_ne_u16_e32 vcc, 11, v6
	s_andn2_b64 s[4:5], s[4:5], exec
	s_and_b64 s[10:11], vcc, exec
	s_mov_b64 s[8:9], -1
	s_or_b64 s[4:5], s[4:5], s[10:11]
	s_branch .LBB9_464
.LBB9_462:
	s_mov_b64 s[8:9], 0
	s_mov_b64 s[6:7], -1
	s_mov_b64 s[4:5], s[56:57]
	s_branch .LBB9_464
.LBB9_463:
	s_mov_b64 s[8:9], 0
.LBB9_464:
	s_and_b64 s[10:11], s[6:7], exec
	s_and_b64 s[6:7], s[8:9], exec
	s_andn2_b64 s[8:9], s[56:57], exec
	s_and_b64 s[4:5], s[4:5], exec
	s_or_b64 s[8:9], s[8:9], s[4:5]
.LBB9_465:
	s_or_b64 exec, exec, s[58:59]
	s_and_b64 s[4:5], s[6:7], exec
	s_andn2_b64 s[6:7], s[56:57], exec
	s_and_b64 s[8:9], s[8:9], exec
	s_and_b64 s[10:11], s[10:11], exec
	s_or_b64 s[56:57], s[6:7], s[8:9]
.LBB9_466:
	s_or_b64 exec, exec, s[54:55]
	s_and_b64 s[6:7], s[10:11], exec
	s_andn2_b64 s[8:9], s[50:51], exec
	s_and_b64 s[10:11], s[56:57], exec
	s_and_b64 s[4:5], s[4:5], exec
	s_or_b64 s[50:51], s[8:9], s[10:11]
.LBB9_467:
	s_or_b64 exec, exec, s[52:53]
	s_and_b64 s[52:53], s[4:5], exec
	s_andn2_b64 s[4:5], s[46:47], exec
	s_and_b64 s[8:9], s[50:51], exec
	s_and_b64 s[6:7], s[6:7], exec
	s_or_b64 s[46:47], s[4:5], s[8:9]
	s_or_b64 exec, exec, s[48:49]
	s_mov_b64 s[4:5], 0
	s_and_saveexec_b64 s[8:9], s[46:47]
	s_cbranch_execz .LBB9_134
.LBB9_468:
	s_mov_b64 s[4:5], exec
	s_andn2_b64 s[52:53], s[52:53], exec
	s_trap 2
	s_or_b64 exec, exec, s[8:9]
	s_and_saveexec_b64 s[8:9], s[52:53]
	s_xor_b64 s[8:9], exec, s[8:9]
	s_cbranch_execnz .LBB9_135
.LBB9_469:
	s_or_b64 exec, exec, s[8:9]
	s_and_saveexec_b64 s[8:9], s[6:7]
	s_xor_b64 s[6:7], exec, s[8:9]
	s_cbranch_execz .LBB9_507
.LBB9_470:
	v_cmp_gt_i16_e32 vcc, 5, v6
	s_mov_b64 s[8:9], -1
	s_cbranch_vccnz .LBB9_491
; %bb.471:
	v_cmp_gt_i16_e32 vcc, 8, v6
	s_cbranch_vccnz .LBB9_481
; %bb.472:
	v_cmp_gt_i16_e32 vcc, 9, v6
	s_cbranch_vccnz .LBB9_478
; %bb.473:
	v_cmp_lt_i16_e32 vcc, 9, v6
	s_cbranch_vccz .LBB9_475
; %bb.474:
	v_mov_b32_e32 v2, 0
	v_mov_b32_e32 v3, v2
	s_mov_b64 s[8:9], 0
	global_store_dwordx4 v[4:5], v[0:3], off
.LBB9_475:
	s_andn2_b64 vcc, exec, s[8:9]
	s_cbranch_vccnz .LBB9_477
; %bb.476:
	v_cvt_f32_f64_e32 v2, v[0:1]
	v_mov_b32_e32 v3, 0
	global_store_dwordx2 v[4:5], v[2:3], off
.LBB9_477:
	s_mov_b64 s[8:9], 0
.LBB9_478:
	s_andn2_b64 vcc, exec, s[8:9]
	s_cbranch_vccnz .LBB9_480
; %bb.479:
	v_cvt_f32_f64_e32 v2, v[0:1]
	v_cvt_f16_f32_e32 v2, v2
	global_store_dword v[4:5], v2, off
.LBB9_480:
	s_mov_b64 s[8:9], 0
.LBB9_481:
	s_andn2_b64 vcc, exec, s[8:9]
	s_cbranch_vccnz .LBB9_490
; %bb.482:
	v_cmp_gt_i16_e32 vcc, 6, v6
	s_mov_b64 s[8:9], -1
	s_cbranch_vccnz .LBB9_488
; %bb.483:
	v_cmp_lt_i16_e32 vcc, 6, v6
	s_cbranch_vccz .LBB9_485
; %bb.484:
	s_mov_b64 s[8:9], 0
	global_store_dwordx2 v[4:5], v[0:1], off
.LBB9_485:
	s_andn2_b64 vcc, exec, s[8:9]
	s_cbranch_vccnz .LBB9_487
; %bb.486:
	v_cvt_f32_f64_e32 v2, v[0:1]
	global_store_dword v[4:5], v2, off
.LBB9_487:
	s_mov_b64 s[8:9], 0
.LBB9_488:
	s_andn2_b64 vcc, exec, s[8:9]
	s_cbranch_vccnz .LBB9_490
; %bb.489:
	v_cvt_f32_f64_e32 v2, v[0:1]
	v_cvt_f16_f32_e32 v2, v2
	global_store_short v[4:5], v2, off
.LBB9_490:
	s_mov_b64 s[8:9], 0
.LBB9_491:
	s_andn2_b64 vcc, exec, s[8:9]
	s_cbranch_vccnz .LBB9_507
; %bb.492:
	v_cmp_gt_i16_e32 vcc, 2, v6
	s_mov_b64 s[8:9], -1
	s_cbranch_vccnz .LBB9_502
; %bb.493:
	v_cmp_gt_i16_e32 vcc, 3, v6
	s_cbranch_vccnz .LBB9_499
; %bb.494:
	v_cmp_lt_i16_e32 vcc, 3, v6
	s_cbranch_vccz .LBB9_496
; %bb.495:
	v_trunc_f64_e32 v[2:3], v[0:1]
	s_movk_i32 s8, 0xffe0
	v_ldexp_f64 v[8:9], v[2:3], s8
	v_floor_f64_e32 v[8:9], v[8:9]
	v_fmac_f64_e32 v[2:3], 0xc1f00000, v[8:9]
	v_cvt_i32_f64_e32 v11, v[8:9]
	v_cvt_u32_f64_e32 v10, v[2:3]
	s_mov_b64 s[8:9], 0
	global_store_dwordx2 v[4:5], v[10:11], off
.LBB9_496:
	s_andn2_b64 vcc, exec, s[8:9]
	s_cbranch_vccnz .LBB9_498
; %bb.497:
	v_cvt_i32_f64_e32 v2, v[0:1]
	global_store_dword v[4:5], v2, off
.LBB9_498:
	s_mov_b64 s[8:9], 0
.LBB9_499:
	s_andn2_b64 vcc, exec, s[8:9]
	s_cbranch_vccnz .LBB9_501
; %bb.500:
	v_cvt_i32_f64_e32 v2, v[0:1]
	global_store_short v[4:5], v2, off
.LBB9_501:
	s_mov_b64 s[8:9], 0
.LBB9_502:
	s_andn2_b64 vcc, exec, s[8:9]
	s_cbranch_vccnz .LBB9_507
; %bb.503:
	v_cmp_lt_i16_e32 vcc, 0, v6
	s_mov_b64 s[8:9], -1
	s_cbranch_vccz .LBB9_505
; %bb.504:
	v_cvt_i32_f64_e32 v2, v[0:1]
	s_mov_b64 s[8:9], 0
	global_store_byte v[4:5], v2, off
.LBB9_505:
	s_andn2_b64 vcc, exec, s[8:9]
	s_cbranch_vccnz .LBB9_507
; %bb.506:
	v_trunc_f64_e32 v[0:1], v[0:1]
	s_movk_i32 s8, 0xffe0
	v_ldexp_f64 v[2:3], v[0:1], s8
	v_floor_f64_e32 v[2:3], v[2:3]
	v_fmac_f64_e32 v[0:1], 0xc1f00000, v[2:3]
	v_cvt_u32_f64_e32 v0, v[0:1]
	global_store_byte v[4:5], v0, off
.LBB9_507:
	s_or_b64 exec, exec, s[6:7]
	s_and_b64 s[46:47], s[4:5], exec
                                        ; implicit-def: $vgpr46
                                        ; implicit-def: $vgpr37
                                        ; implicit-def: $vgpr44
                                        ; implicit-def: $vgpr45
.LBB9_508:
	s_or_saveexec_b64 s[44:45], s[44:45]
	s_mov_b64 s[4:5], 0
                                        ; implicit-def: $vgpr6
                                        ; implicit-def: $vgpr4_vgpr5
                                        ; implicit-def: $vgpr0_vgpr1
	s_xor_b64 exec, exec, s[44:45]
	s_cbranch_execz .LBB9_959
; %bb.509:
	v_mov_b32_e32 v0, s38
	v_mov_b32_e32 v1, s39
	;; [unrolled: 1-line block ×5, first 2 shown]
	v_add_u32_e32 v38, 0x80, v37
	v_add_u32_e32 v39, 0x100, v37
	s_getpc_b64 s[42:43]
	s_add_u32 s42, s42, _ZN2at6native6invokeIZZZNS0_12_GLOBAL__N_121bessel_j0_kernel_cudaERNS_18TensorIteratorBaseEENKUlvE_clEvENKUlvE_clEvEUldE_i15function_traitsIS7_EEENT1_11result_typeERKT_PrKPcPKT0_PKN3c1010ScalarTypeEi@rel32@lo+4
	s_addc_u32 s43, s43, _ZN2at6native6invokeIZZZNS0_12_GLOBAL__N_121bessel_j0_kernel_cudaERNS_18TensorIteratorBaseEENKUlvE_clEvENKUlvE_clEvEUldE_i15function_traitsIS7_EEENT1_11result_typeERKT_PrKPcPKT0_PKN3c1010ScalarTypeEi@rel32@hi+12
	s_swappc_b64 s[30:31], s[42:43]
	v_mov_b32_e32 v42, v0
	v_mov_b32_e32 v43, v1
	v_mov_b32_e32 v0, s38
	v_mov_b32_e32 v1, s39
	v_mov_b32_e32 v2, s41
	v_mov_b32_e32 v3, v44
	v_mov_b32_e32 v4, v38
	s_swappc_b64 s[30:31], s[42:43]
	v_mov_b32_e32 v40, v0
	v_mov_b32_e32 v41, v1
	v_mov_b32_e32 v0, s38
	v_mov_b32_e32 v1, s39
	v_mov_b32_e32 v2, s41
	v_mov_b32_e32 v3, v44
	v_mov_b32_e32 v4, v39
	;; [unrolled: 8-line block ×3, first 2 shown]
	s_swappc_b64 s[30:31], s[42:43]
	v_mul_lo_u32 v4, s40, v37
	v_ashrrev_i32_e32 v3, 31, v4
	v_mov_b32_e32 v5, s37
	v_add_co_u32_e32 v2, vcc, s36, v4
	v_addc_co_u32_e32 v3, vcc, v5, v3, vcc
	v_mov_b32_e32 v5, 11
	v_cmp_lt_i16_sdwa s[4:5], v46, v5 src0_sel:BYTE_0 src1_sel:DWORD
	s_and_b64 vcc, exec, s[4:5]
	s_cbranch_vccnz .LBB9_516
; %bb.510:
	v_mov_b32_e32 v5, 25
	v_cmp_gt_i16_sdwa s[4:5], v46, v5 src0_sel:BYTE_0 src1_sel:DWORD
	s_mov_b64 s[6:7], -1
	s_mov_b64 s[8:9], 0
	s_and_b64 vcc, exec, s[4:5]
	s_mov_b64 s[10:11], 0
	s_mov_b64 s[4:5], 0
	s_cbranch_vccz .LBB9_546
; %bb.511:
	v_mov_b32_e32 v5, 28
	v_cmp_gt_i16_sdwa s[4:5], v46, v5 src0_sel:BYTE_0 src1_sel:DWORD
	s_and_b64 vcc, exec, s[4:5]
	s_cbranch_vccz .LBB9_518
; %bb.512:
	v_mov_b32_e32 v5, 43
	v_cmp_gt_i16_sdwa s[4:5], v46, v5 src0_sel:BYTE_0 src1_sel:DWORD
	s_and_b64 vcc, exec, s[4:5]
	;; [unrolled: 5-line block ×3, first 2 shown]
	s_cbranch_vccz .LBB9_520
; %bb.514:
	v_mov_b32_e32 v5, 46
	v_cmp_eq_u16_sdwa s[10:11], v46, v5 src0_sel:BYTE_0 src1_sel:DWORD
	s_mov_b64 s[4:5], -1
	s_mov_b64 s[6:7], 0
	s_and_b64 vcc, exec, s[10:11]
	s_mov_b64 s[10:11], 0
	s_cbranch_vccz .LBB9_521
; %bb.515:
	v_cvt_f32_f64_e32 v5, v[42:43]
	v_bfe_u32 v6, v5, 16, 1
	s_movk_i32 s4, 0x7fff
	v_add3_u32 v6, v5, v6, s4
	v_lshrrev_b32_e32 v6, 16, v6
	v_mov_b32_e32 v7, 0x7fc0
	v_cmp_o_f32_e32 vcc, v5, v5
	v_cndmask_b32_e32 v5, v7, v6, vcc
	global_store_dword v[2:3], v5, off
	s_mov_b64 s[4:5], 0
	s_mov_b64 s[10:11], -1
	s_branch .LBB9_521
.LBB9_516:
	s_mov_b64 s[10:11], 0
	s_mov_b64 s[6:7], s[46:47]
	s_cbranch_execnz .LBB9_590
.LBB9_517:
	s_andn2_b64 vcc, exec, s[10:11]
	s_cbranch_vccz .LBB9_628
	s_branch .LBB9_957
.LBB9_518:
	s_mov_b64 s[4:5], 0
	s_and_b64 vcc, exec, s[6:7]
	s_cbranch_vccz .LBB9_545
	s_branch .LBB9_530
.LBB9_519:
	s_mov_b64 s[4:5], 0
	s_and_b64 vcc, exec, s[6:7]
	s_cbranch_vccnz .LBB9_527
	s_branch .LBB9_529
.LBB9_520:
	s_mov_b64 s[4:5], 0
.LBB9_521:
	s_and_b64 vcc, exec, s[6:7]
	s_cbranch_vccz .LBB9_526
; %bb.522:
	v_mov_b32_e32 v5, 44
	v_cmp_eq_u16_sdwa s[6:7], v46, v5 src0_sel:BYTE_0 src1_sel:DWORD
	s_mov_b64 s[4:5], -1
	s_and_b64 vcc, exec, s[6:7]
	s_cbranch_vccz .LBB9_526
; %bb.523:
	v_cvt_f32_f64_e32 v5, v[42:43]
	v_bfe_u32 v6, v5, 23, 8
	s_movk_i32 s4, 0xff
	v_cmp_ne_u32_e32 vcc, s4, v6
	v_mov_b32_e32 v7, 0xff
	s_and_saveexec_b64 s[6:7], vcc
; %bb.524:
	s_mov_b32 s4, 0x3fffff
	v_lshrrev_b32_e32 v7, 23, v5
	v_and_b32_e32 v8, 0x400000, v5
	v_and_or_b32 v5, v5, s4, v6
	v_cmp_ne_u32_e32 vcc, 0, v8
	v_cmp_ne_u32_e64 s[4:5], 0, v5
	s_and_b64 s[4:5], vcc, s[4:5]
	v_cndmask_b32_e64 v5, 0, 1, s[4:5]
	v_add_u32_e32 v7, v7, v5
; %bb.525:
	s_or_b64 exec, exec, s[6:7]
	s_mov_b64 s[4:5], 0
	s_mov_b64 s[10:11], -1
	global_store_byte v[2:3], v7, off
.LBB9_526:
	s_branch .LBB9_529
.LBB9_527:
	v_mov_b32_e32 v5, 29
	v_cmp_eq_u16_sdwa s[6:7], v46, v5 src0_sel:BYTE_0 src1_sel:DWORD
	s_mov_b64 s[4:5], -1
	s_and_b64 vcc, exec, s[6:7]
	s_cbranch_vccz .LBB9_529
; %bb.528:
	v_trunc_f64_e32 v[6:7], v[42:43]
	s_movk_i32 s4, 0xffe0
	v_ldexp_f64 v[8:9], v[6:7], s4
	v_floor_f64_e32 v[8:9], v[8:9]
	v_fmac_f64_e32 v[6:7], 0xc1f00000, v[8:9]
	v_cvt_u32_f64_e32 v11, v[8:9]
	v_cvt_u32_f64_e32 v10, v[6:7]
	global_store_dwordx2 v[2:3], v[10:11], off
	s_mov_b64 s[4:5], 0
	s_mov_b64 s[10:11], -1
.LBB9_529:
	s_branch .LBB9_545
.LBB9_530:
	v_mov_b32_e32 v5, 27
	v_cmp_lt_i16_sdwa s[10:11], v46, v5 src0_sel:BYTE_0 src1_sel:DWORD
	s_mov_b64 s[6:7], -1
	s_and_b64 vcc, exec, s[10:11]
	s_cbranch_vccnz .LBB9_536
; %bb.531:
	v_cmp_gt_i16_sdwa s[10:11], v46, v5 src0_sel:BYTE_0 src1_sel:DWORD
	s_and_b64 vcc, exec, s[10:11]
	v_cvt_u32_f64_e32 v5, v[42:43]
	s_cbranch_vccz .LBB9_533
; %bb.532:
	s_mov_b64 s[6:7], 0
	global_store_dword v[2:3], v5, off
.LBB9_533:
	s_andn2_b64 vcc, exec, s[6:7]
	s_cbranch_vccnz .LBB9_535
; %bb.534:
	global_store_short v[2:3], v5, off
.LBB9_535:
	s_mov_b64 s[6:7], 0
.LBB9_536:
	s_andn2_b64 vcc, exec, s[6:7]
	s_cbranch_vccnz .LBB9_544
; %bb.537:
	v_cvt_f32_f64_e32 v5, v[42:43]
	v_and_b32_e32 v6, 0x7fffffff, v5
	s_mov_b32 s6, 0x43800000
	v_cmp_gt_u32_e32 vcc, s6, v6
	v_mov_b32_e32 v7, 0x80
	s_and_saveexec_b64 s[6:7], vcc
	s_cbranch_execz .LBB9_543
; %bb.538:
	s_mov_b32 s10, 0x3bffffff
	v_cmp_lt_u32_e32 vcc, s10, v6
	s_mov_b64 s[10:11], 0
                                        ; implicit-def: $vgpr6
	s_and_saveexec_b64 s[12:13], vcc
	s_xor_b64 s[12:13], exec, s[12:13]
	s_cbranch_execz .LBB9_638
; %bb.539:
	v_bfe_u32 v6, v5, 20, 1
	s_mov_b32 s14, 0x487ffff
	v_add3_u32 v6, v5, v6, s14
	s_mov_b64 s[10:11], exec
	v_lshrrev_b32_e32 v6, 20, v6
	s_or_saveexec_b64 s[12:13], s[12:13]
                                        ; implicit-def: $sgpr14
	s_xor_b64 exec, exec, s[12:13]
	s_cbranch_execnz .LBB9_639
.LBB9_540:
	s_or_b64 exec, exec, s[12:13]
	v_mov_b32_e32 v7, s14
	s_and_saveexec_b64 s[12:13], s[10:11]
.LBB9_541:
	v_lshrrev_b32_e32 v5, 24, v5
	s_movk_i32 s10, 0x80
	v_and_or_b32 v7, v5, s10, v6
.LBB9_542:
	s_or_b64 exec, exec, s[12:13]
.LBB9_543:
	s_or_b64 exec, exec, s[6:7]
	global_store_byte v[2:3], v7, off
.LBB9_544:
	s_mov_b64 s[10:11], -1
.LBB9_545:
	s_mov_b64 s[6:7], 0
.LBB9_546:
	s_and_b64 vcc, exec, s[6:7]
	s_cbranch_vccz .LBB9_586
; %bb.547:
	v_mov_b32_e32 v5, 22
	v_cmp_gt_i16_sdwa s[8:9], v46, v5 src0_sel:BYTE_0 src1_sel:DWORD
	s_mov_b64 s[6:7], -1
	s_and_b64 vcc, exec, s[8:9]
	s_cbranch_vccz .LBB9_579
; %bb.548:
	v_mov_b32_e32 v5, 24
	v_cmp_lt_i16_sdwa s[8:9], v46, v5 src0_sel:BYTE_0 src1_sel:DWORD
	s_and_b64 vcc, exec, s[8:9]
	s_cbranch_vccnz .LBB9_568
; %bb.549:
	v_cmp_gt_i16_sdwa s[8:9], v46, v5 src0_sel:BYTE_0 src1_sel:DWORD
	s_and_b64 vcc, exec, s[8:9]
	s_cbranch_vccz .LBB9_557
; %bb.550:
	v_cvt_f32_f64_e32 v5, v[42:43]
	v_and_b32_e32 v6, 0x7fffffff, v5
	s_mov_b32 s6, 0x47800000
	v_cmp_gt_u32_e32 vcc, s6, v6
	v_mov_b32_e32 v7, 0x80
	s_and_saveexec_b64 s[6:7], vcc
	s_cbranch_execz .LBB9_556
; %bb.551:
	s_mov_b32 s8, 0x37ffffff
	v_cmp_lt_u32_e32 vcc, s8, v6
	s_mov_b64 s[8:9], 0
                                        ; implicit-def: $vgpr6
	s_and_saveexec_b64 s[10:11], vcc
	s_xor_b64 s[10:11], exec, s[10:11]
	s_cbranch_execz .LBB9_642
; %bb.552:
	v_bfe_u32 v6, v5, 21, 1
	s_mov_b32 s12, 0x88fffff
	v_add3_u32 v6, v5, v6, s12
	s_mov_b64 s[8:9], exec
	v_lshrrev_b32_e32 v6, 21, v6
	s_or_saveexec_b64 s[10:11], s[10:11]
                                        ; implicit-def: $sgpr12
	s_xor_b64 exec, exec, s[10:11]
	s_cbranch_execnz .LBB9_643
.LBB9_553:
	s_or_b64 exec, exec, s[10:11]
	v_mov_b32_e32 v7, s12
	s_and_saveexec_b64 s[10:11], s[8:9]
.LBB9_554:
	v_lshrrev_b32_e32 v5, 24, v5
	s_movk_i32 s8, 0x80
	v_and_or_b32 v7, v5, s8, v6
.LBB9_555:
	s_or_b64 exec, exec, s[10:11]
.LBB9_556:
	s_or_b64 exec, exec, s[6:7]
	s_mov_b64 s[6:7], 0
	global_store_byte v[2:3], v7, off
.LBB9_557:
	s_and_b64 vcc, exec, s[6:7]
	s_cbranch_vccz .LBB9_567
; %bb.558:
	v_cvt_f32_f64_e32 v5, v[42:43]
	v_and_b32_e32 v7, 0x7fffffff, v5
	s_mov_b32 s6, 0x43f00000
	v_cmp_gt_u32_e32 vcc, s6, v7
                                        ; implicit-def: $vgpr6
	s_and_saveexec_b64 s[6:7], vcc
	s_xor_b64 s[6:7], exec, s[6:7]
	s_cbranch_execz .LBB9_564
; %bb.559:
	s_mov_b32 s8, 0x3c7fffff
	v_cmp_lt_u32_e32 vcc, s8, v7
                                        ; implicit-def: $vgpr6
	s_and_saveexec_b64 s[8:9], vcc
	s_xor_b64 s[8:9], exec, s[8:9]
; %bb.560:
	v_bfe_u32 v6, v5, 20, 1
	s_mov_b32 s10, 0x407ffff
	v_add3_u32 v6, v5, v6, s10
	v_lshrrev_b32_e32 v7, 20, v6
	v_and_b32_e32 v6, 0xff00000, v6
	s_mov_b32 s10, 0x7f00000
	v_mov_b32_e32 v8, 0x7e
	v_cmp_ne_u32_e32 vcc, s10, v6
	v_cndmask_b32_e32 v6, v8, v7, vcc
; %bb.561:
	s_andn2_saveexec_b64 s[8:9], s[8:9]
; %bb.562:
	s_mov_b32 s10, 0x46800000
	v_add_f32_e64 v6, |v5|, s10
; %bb.563:
	s_or_b64 exec, exec, s[8:9]
                                        ; implicit-def: $vgpr7
.LBB9_564:
	s_andn2_saveexec_b64 s[6:7], s[6:7]
; %bb.565:
	s_mov_b32 s8, 0x7f800000
	v_mov_b32_e32 v6, 0x7e
	v_mov_b32_e32 v8, 0x7f
	v_cmp_lt_u32_e32 vcc, s8, v7
	v_cndmask_b32_e32 v6, v6, v8, vcc
; %bb.566:
	s_or_b64 exec, exec, s[6:7]
	v_lshrrev_b32_e32 v5, 24, v5
	s_movk_i32 s6, 0x80
	v_and_or_b32 v5, v5, s6, v6
	global_store_byte v[2:3], v5, off
.LBB9_567:
	s_mov_b64 s[6:7], 0
.LBB9_568:
	s_andn2_b64 vcc, exec, s[6:7]
	s_cbranch_vccnz .LBB9_578
; %bb.569:
	v_cvt_f32_f64_e32 v5, v[42:43]
	v_and_b32_e32 v7, 0x7fffffff, v5
	s_mov_b32 s6, 0x47800000
	v_cmp_gt_u32_e32 vcc, s6, v7
                                        ; implicit-def: $vgpr6
	s_and_saveexec_b64 s[6:7], vcc
	s_xor_b64 s[6:7], exec, s[6:7]
	s_cbranch_execz .LBB9_575
; %bb.570:
	s_mov_b32 s8, 0x387fffff
	v_cmp_lt_u32_e32 vcc, s8, v7
                                        ; implicit-def: $vgpr6
	s_and_saveexec_b64 s[8:9], vcc
	s_xor_b64 s[8:9], exec, s[8:9]
; %bb.571:
	v_bfe_u32 v6, v5, 21, 1
	s_mov_b32 s10, 0x80fffff
	v_add3_u32 v6, v5, v6, s10
	v_lshrrev_b32_e32 v6, 21, v6
; %bb.572:
	s_andn2_saveexec_b64 s[8:9], s[8:9]
; %bb.573:
	s_mov_b32 s10, 0x43000000
	v_add_f32_e64 v6, |v5|, s10
; %bb.574:
	s_or_b64 exec, exec, s[8:9]
                                        ; implicit-def: $vgpr7
.LBB9_575:
	s_andn2_saveexec_b64 s[6:7], s[6:7]
; %bb.576:
	s_mov_b32 s8, 0x7f800000
	v_mov_b32_e32 v6, 0x7c
	v_mov_b32_e32 v8, 0x7f
	v_cmp_lt_u32_e32 vcc, s8, v7
	v_cndmask_b32_e32 v6, v6, v8, vcc
; %bb.577:
	s_or_b64 exec, exec, s[6:7]
	v_lshrrev_b32_e32 v5, 24, v5
	s_movk_i32 s6, 0x80
	v_and_or_b32 v5, v5, s6, v6
	global_store_byte v[2:3], v5, off
.LBB9_578:
	s_mov_b64 s[6:7], 0
	s_mov_b64 s[10:11], -1
.LBB9_579:
	s_andn2_b64 vcc, exec, s[6:7]
	s_mov_b64 s[8:9], 0
	s_cbranch_vccnz .LBB9_586
; %bb.580:
	v_mov_b32_e32 v5, 14
	v_cmp_gt_i16_sdwa s[8:9], v46, v5 src0_sel:BYTE_0 src1_sel:DWORD
	s_mov_b64 s[6:7], -1
	s_and_b64 vcc, exec, s[8:9]
	s_cbranch_vccz .LBB9_584
; %bb.581:
	v_mov_b32_e32 v5, 15
	v_cmp_eq_u16_sdwa s[6:7], v46, v5 src0_sel:BYTE_0 src1_sel:DWORD
	s_mov_b64 s[4:5], -1
	s_and_b64 vcc, exec, s[6:7]
	s_cbranch_vccz .LBB9_583
; %bb.582:
	v_cvt_f32_f64_e32 v5, v[42:43]
	v_bfe_u32 v6, v5, 16, 1
	s_movk_i32 s4, 0x7fff
	v_add3_u32 v6, v5, v6, s4
	v_lshrrev_b32_e32 v6, 16, v6
	v_mov_b32_e32 v7, 0x7fc0
	v_cmp_o_f32_e32 vcc, v5, v5
	v_cndmask_b32_e32 v5, v7, v6, vcc
	global_store_short v[2:3], v5, off
	s_mov_b64 s[4:5], 0
	s_mov_b64 s[10:11], -1
.LBB9_583:
	s_mov_b64 s[6:7], 0
.LBB9_584:
	s_mov_b64 s[8:9], 0
	s_and_b64 vcc, exec, s[6:7]
	s_cbranch_vccz .LBB9_586
; %bb.585:
	v_mov_b32_e32 v5, 11
	v_cmp_ne_u16_sdwa s[4:5], v46, v5 src0_sel:BYTE_0 src1_sel:DWORD
	s_mov_b64 s[8:9], -1
.LBB9_586:
	s_and_b64 vcc, exec, s[4:5]
	s_mov_b64 s[6:7], s[46:47]
	s_cbranch_vccnz .LBB9_641
; %bb.587:
	s_andn2_b64 vcc, exec, s[8:9]
	s_cbranch_vccnz .LBB9_589
.LBB9_588:
	v_cmp_neq_f64_e32 vcc, 0, v[42:43]
	v_cndmask_b32_e64 v5, 0, 1, vcc
	global_store_byte v[2:3], v5, off
	s_mov_b64 s[10:11], -1
.LBB9_589:
	s_branch .LBB9_517
.LBB9_590:
	v_mov_b32_e32 v5, 5
	v_cmp_lt_i16_sdwa s[8:9], v46, v5 src0_sel:BYTE_0 src1_sel:DWORD
	s_mov_b64 s[4:5], -1
	s_and_b64 vcc, exec, s[8:9]
	s_cbranch_vccnz .LBB9_611
; %bb.591:
	v_mov_b32_e32 v5, 8
	v_cmp_lt_i16_sdwa s[8:9], v46, v5 src0_sel:BYTE_0 src1_sel:DWORD
	s_and_b64 vcc, exec, s[8:9]
	s_cbranch_vccnz .LBB9_601
; %bb.592:
	v_mov_b32_e32 v5, 9
	v_cmp_lt_i16_sdwa s[8:9], v46, v5 src0_sel:BYTE_0 src1_sel:DWORD
	s_and_b64 vcc, exec, s[8:9]
	s_cbranch_vccnz .LBB9_598
; %bb.593:
	v_cmp_gt_i16_sdwa s[8:9], v46, v5 src0_sel:BYTE_0 src1_sel:DWORD
	s_and_b64 vcc, exec, s[8:9]
	s_cbranch_vccz .LBB9_595
; %bb.594:
	v_mov_b32_e32 v44, 0
	v_mov_b32_e32 v45, v44
	global_store_dwordx4 v[2:3], v[42:45], off
	s_mov_b64 s[4:5], 0
.LBB9_595:
	s_andn2_b64 vcc, exec, s[4:5]
	s_cbranch_vccnz .LBB9_597
; %bb.596:
	v_cvt_f32_f64_e32 v6, v[42:43]
	v_mov_b32_e32 v7, 0
	global_store_dwordx2 v[2:3], v[6:7], off
.LBB9_597:
	s_mov_b64 s[4:5], 0
.LBB9_598:
	s_andn2_b64 vcc, exec, s[4:5]
	s_cbranch_vccnz .LBB9_600
; %bb.599:
	v_cvt_f32_f64_e32 v5, v[42:43]
	v_cvt_f16_f32_e32 v5, v5
	global_store_dword v[2:3], v5, off
.LBB9_600:
	s_mov_b64 s[4:5], 0
.LBB9_601:
	s_andn2_b64 vcc, exec, s[4:5]
	s_cbranch_vccnz .LBB9_610
; %bb.602:
	v_mov_b32_e32 v5, 6
	v_cmp_lt_i16_sdwa s[8:9], v46, v5 src0_sel:BYTE_0 src1_sel:DWORD
	s_mov_b64 s[4:5], -1
	s_and_b64 vcc, exec, s[8:9]
	s_cbranch_vccnz .LBB9_608
; %bb.603:
	v_cmp_gt_i16_sdwa s[8:9], v46, v5 src0_sel:BYTE_0 src1_sel:DWORD
	s_and_b64 vcc, exec, s[8:9]
	s_cbranch_vccz .LBB9_605
; %bb.604:
	global_store_dwordx2 v[2:3], v[42:43], off
	s_mov_b64 s[4:5], 0
.LBB9_605:
	s_andn2_b64 vcc, exec, s[4:5]
	s_cbranch_vccnz .LBB9_607
; %bb.606:
	v_cvt_f32_f64_e32 v5, v[42:43]
	global_store_dword v[2:3], v5, off
.LBB9_607:
	s_mov_b64 s[4:5], 0
.LBB9_608:
	s_andn2_b64 vcc, exec, s[4:5]
	s_cbranch_vccnz .LBB9_610
; %bb.609:
	v_cvt_f32_f64_e32 v5, v[42:43]
	v_cvt_f16_f32_e32 v5, v5
	global_store_short v[2:3], v5, off
.LBB9_610:
	s_mov_b64 s[4:5], 0
.LBB9_611:
	s_andn2_b64 vcc, exec, s[4:5]
	s_cbranch_vccnz .LBB9_627
; %bb.612:
	v_mov_b32_e32 v5, 2
	v_cmp_lt_i16_sdwa s[8:9], v46, v5 src0_sel:BYTE_0 src1_sel:DWORD
	s_mov_b64 s[4:5], -1
	s_and_b64 vcc, exec, s[8:9]
	s_cbranch_vccnz .LBB9_622
; %bb.613:
	v_mov_b32_e32 v5, 3
	v_cmp_lt_i16_sdwa s[8:9], v46, v5 src0_sel:BYTE_0 src1_sel:DWORD
	s_and_b64 vcc, exec, s[8:9]
	s_cbranch_vccnz .LBB9_619
; %bb.614:
	v_cmp_gt_i16_sdwa s[8:9], v46, v5 src0_sel:BYTE_0 src1_sel:DWORD
	s_and_b64 vcc, exec, s[8:9]
	s_cbranch_vccz .LBB9_616
; %bb.615:
	v_trunc_f64_e32 v[6:7], v[42:43]
	s_movk_i32 s4, 0xffe0
	v_ldexp_f64 v[8:9], v[6:7], s4
	v_floor_f64_e32 v[8:9], v[8:9]
	v_fmac_f64_e32 v[6:7], 0xc1f00000, v[8:9]
	v_cvt_i32_f64_e32 v11, v[8:9]
	v_cvt_u32_f64_e32 v10, v[6:7]
	global_store_dwordx2 v[2:3], v[10:11], off
	s_mov_b64 s[4:5], 0
.LBB9_616:
	s_andn2_b64 vcc, exec, s[4:5]
	s_cbranch_vccnz .LBB9_618
; %bb.617:
	v_cvt_i32_f64_e32 v5, v[42:43]
	global_store_dword v[2:3], v5, off
.LBB9_618:
	s_mov_b64 s[4:5], 0
.LBB9_619:
	s_andn2_b64 vcc, exec, s[4:5]
	s_cbranch_vccnz .LBB9_621
; %bb.620:
	v_cvt_i32_f64_e32 v5, v[42:43]
	global_store_short v[2:3], v5, off
.LBB9_621:
	s_mov_b64 s[4:5], 0
.LBB9_622:
	s_andn2_b64 vcc, exec, s[4:5]
	s_cbranch_vccnz .LBB9_627
; %bb.623:
	v_mov_b32_e32 v5, 0
	v_cmp_gt_i16_sdwa s[8:9], v46, v5 src0_sel:BYTE_0 src1_sel:DWORD
	s_mov_b64 s[4:5], -1
	s_and_b64 vcc, exec, s[8:9]
	s_cbranch_vccz .LBB9_625
; %bb.624:
	v_cvt_i32_f64_e32 v5, v[42:43]
	global_store_byte v[2:3], v5, off
	s_mov_b64 s[4:5], 0
.LBB9_625:
	s_andn2_b64 vcc, exec, s[4:5]
	s_cbranch_vccnz .LBB9_627
; %bb.626:
	v_trunc_f64_e32 v[6:7], v[42:43]
	s_movk_i32 s4, 0xffe0
	v_ldexp_f64 v[8:9], v[6:7], s4
	v_floor_f64_e32 v[8:9], v[8:9]
	v_fmac_f64_e32 v[6:7], 0xc1f00000, v[8:9]
	v_cvt_u32_f64_e32 v5, v[6:7]
	global_store_byte v[2:3], v5, off
.LBB9_627:
.LBB9_628:
	s_lshl_b32 s16, s40, 7
	v_add_u32_e32 v4, s16, v4
	v_ashrrev_i32_e32 v3, 31, v4
	v_mov_b32_e32 v5, s37
	v_add_co_u32_e32 v2, vcc, s36, v4
	v_addc_co_u32_e32 v3, vcc, v5, v3, vcc
	v_mov_b32_e32 v5, 11
	v_cmp_lt_i16_sdwa s[4:5], v46, v5 src0_sel:BYTE_0 src1_sel:DWORD
	s_and_b64 vcc, exec, s[4:5]
	s_cbranch_vccnz .LBB9_635
; %bb.629:
	v_mov_b32_e32 v5, 25
	v_cmp_gt_i16_sdwa s[4:5], v46, v5 src0_sel:BYTE_0 src1_sel:DWORD
	s_mov_b64 s[12:13], -1
	s_mov_b64 s[8:9], 0
	s_and_b64 vcc, exec, s[4:5]
	s_mov_b64 s[10:11], 0
	s_mov_b64 s[4:5], 0
	s_cbranch_vccz .LBB9_672
; %bb.630:
	v_mov_b32_e32 v5, 28
	v_cmp_gt_i16_sdwa s[4:5], v46, v5 src0_sel:BYTE_0 src1_sel:DWORD
	s_and_b64 vcc, exec, s[4:5]
	s_cbranch_vccz .LBB9_637
; %bb.631:
	v_mov_b32_e32 v5, 43
	v_cmp_gt_i16_sdwa s[4:5], v46, v5 src0_sel:BYTE_0 src1_sel:DWORD
	s_and_b64 vcc, exec, s[4:5]
	;; [unrolled: 5-line block ×3, first 2 shown]
	s_cbranch_vccz .LBB9_644
; %bb.633:
	v_mov_b32_e32 v5, 46
	v_cmp_eq_u16_sdwa s[10:11], v46, v5 src0_sel:BYTE_0 src1_sel:DWORD
	s_mov_b64 s[4:5], -1
	s_mov_b64 s[12:13], 0
	s_and_b64 vcc, exec, s[10:11]
	s_mov_b64 s[10:11], 0
	s_cbranch_vccz .LBB9_645
; %bb.634:
	v_cvt_f32_f64_e32 v5, v[40:41]
	v_bfe_u32 v6, v5, 16, 1
	s_movk_i32 s4, 0x7fff
	v_add3_u32 v6, v5, v6, s4
	v_lshrrev_b32_e32 v6, 16, v6
	v_mov_b32_e32 v7, 0x7fc0
	v_cmp_o_f32_e32 vcc, v5, v5
	v_cndmask_b32_e32 v5, v7, v6, vcc
	global_store_dword v[2:3], v5, off
	s_mov_b64 s[4:5], 0
	s_mov_b64 s[10:11], -1
	s_branch .LBB9_645
.LBB9_635:
	s_mov_b64 s[10:11], 0
	s_cbranch_execnz .LBB9_716
.LBB9_636:
	s_andn2_b64 vcc, exec, s[10:11]
	s_cbranch_vccz .LBB9_754
	s_branch .LBB9_957
.LBB9_637:
	s_mov_b64 s[4:5], 0
	s_branch .LBB9_655
.LBB9_638:
	s_or_saveexec_b64 s[12:13], s[12:13]
                                        ; implicit-def: $sgpr14
	s_xor_b64 exec, exec, s[12:13]
	s_cbranch_execz .LBB9_540
.LBB9_639:
	s_mov_b32 s14, 0x46000000
	v_add_f32_e64 v6, |v5|, s14
	v_and_b32_e32 v6, 0xff, v6
	v_cmp_ne_u32_e32 vcc, 0, v6
	s_andn2_b64 s[10:11], s[10:11], exec
	s_and_b64 s[16:17], vcc, exec
	s_mov_b32 s14, 0
	s_or_b64 s[10:11], s[10:11], s[16:17]
	s_or_b64 exec, exec, s[12:13]
	v_mov_b32_e32 v7, s14
	s_and_saveexec_b64 s[12:13], s[10:11]
	s_cbranch_execnz .LBB9_541
	s_branch .LBB9_542
.LBB9_640:
	s_mov_b64 s[4:5], 0
	s_branch .LBB9_651
.LBB9_641:
	s_or_b64 s[6:7], s[46:47], exec
	s_trap 2
	s_cbranch_execz .LBB9_588
	s_branch .LBB9_589
.LBB9_642:
	s_or_saveexec_b64 s[10:11], s[10:11]
                                        ; implicit-def: $sgpr12
	s_xor_b64 exec, exec, s[10:11]
	s_cbranch_execz .LBB9_553
.LBB9_643:
	s_mov_b32 s12, 0x42800000
	v_add_f32_e64 v6, |v5|, s12
	v_and_b32_e32 v6, 0xff, v6
	v_cmp_ne_u32_e32 vcc, 0, v6
	s_andn2_b64 s[8:9], s[8:9], exec
	s_and_b64 s[14:15], vcc, exec
	s_mov_b32 s12, 0
	s_or_b64 s[8:9], s[8:9], s[14:15]
	s_or_b64 exec, exec, s[10:11]
	v_mov_b32_e32 v7, s12
	s_and_saveexec_b64 s[10:11], s[8:9]
	s_cbranch_execnz .LBB9_554
	s_branch .LBB9_555
.LBB9_644:
	s_mov_b64 s[4:5], 0
.LBB9_645:
	s_and_b64 vcc, exec, s[12:13]
	s_cbranch_vccz .LBB9_650
; %bb.646:
	v_mov_b32_e32 v5, 44
	v_cmp_eq_u16_sdwa s[12:13], v46, v5 src0_sel:BYTE_0 src1_sel:DWORD
	s_mov_b64 s[4:5], -1
	s_and_b64 vcc, exec, s[12:13]
	s_cbranch_vccz .LBB9_650
; %bb.647:
	v_cvt_f32_f64_e32 v5, v[40:41]
	v_bfe_u32 v6, v5, 23, 8
	s_movk_i32 s4, 0xff
	v_cmp_ne_u32_e32 vcc, s4, v6
	v_mov_b32_e32 v7, 0xff
	s_and_saveexec_b64 s[10:11], vcc
; %bb.648:
	s_mov_b32 s4, 0x3fffff
	v_lshrrev_b32_e32 v7, 23, v5
	v_and_b32_e32 v8, 0x400000, v5
	v_and_or_b32 v5, v5, s4, v6
	v_cmp_ne_u32_e32 vcc, 0, v8
	v_cmp_ne_u32_e64 s[4:5], 0, v5
	s_and_b64 s[4:5], vcc, s[4:5]
	v_cndmask_b32_e64 v5, 0, 1, s[4:5]
	v_add_u32_e32 v7, v7, v5
; %bb.649:
	s_or_b64 exec, exec, s[10:11]
	s_mov_b64 s[4:5], 0
	s_mov_b64 s[10:11], -1
	global_store_byte v[2:3], v7, off
.LBB9_650:
	s_mov_b64 s[12:13], 0
.LBB9_651:
	s_and_b64 vcc, exec, s[12:13]
	s_cbranch_vccz .LBB9_654
; %bb.652:
	v_mov_b32_e32 v5, 29
	v_cmp_eq_u16_sdwa s[12:13], v46, v5 src0_sel:BYTE_0 src1_sel:DWORD
	s_mov_b64 s[4:5], -1
	s_and_b64 vcc, exec, s[12:13]
	s_cbranch_vccz .LBB9_654
; %bb.653:
	v_trunc_f64_e32 v[6:7], v[40:41]
	s_movk_i32 s4, 0xffe0
	v_ldexp_f64 v[8:9], v[6:7], s4
	v_floor_f64_e32 v[8:9], v[8:9]
	v_fmac_f64_e32 v[6:7], 0xc1f00000, v[8:9]
	v_cvt_u32_f64_e32 v11, v[8:9]
	v_cvt_u32_f64_e32 v10, v[6:7]
	global_store_dwordx2 v[2:3], v[10:11], off
	s_mov_b64 s[4:5], 0
	s_mov_b64 s[10:11], -1
.LBB9_654:
	s_mov_b64 s[12:13], 0
.LBB9_655:
	s_and_b64 vcc, exec, s[12:13]
	s_cbranch_vccz .LBB9_671
; %bb.656:
	v_mov_b32_e32 v5, 27
	v_cmp_lt_i16_sdwa s[12:13], v46, v5 src0_sel:BYTE_0 src1_sel:DWORD
	s_mov_b64 s[10:11], -1
	s_and_b64 vcc, exec, s[12:13]
	s_cbranch_vccnz .LBB9_662
; %bb.657:
	v_cmp_gt_i16_sdwa s[12:13], v46, v5 src0_sel:BYTE_0 src1_sel:DWORD
	s_and_b64 vcc, exec, s[12:13]
	v_cvt_u32_f64_e32 v5, v[40:41]
	s_cbranch_vccz .LBB9_659
; %bb.658:
	s_mov_b64 s[10:11], 0
	global_store_dword v[2:3], v5, off
.LBB9_659:
	s_andn2_b64 vcc, exec, s[10:11]
	s_cbranch_vccnz .LBB9_661
; %bb.660:
	global_store_short v[2:3], v5, off
.LBB9_661:
	s_mov_b64 s[10:11], 0
.LBB9_662:
	s_andn2_b64 vcc, exec, s[10:11]
	s_cbranch_vccnz .LBB9_670
; %bb.663:
	v_cvt_f32_f64_e32 v5, v[40:41]
	v_and_b32_e32 v6, 0x7fffffff, v5
	s_mov_b32 s10, 0x43800000
	v_cmp_gt_u32_e32 vcc, s10, v6
	v_mov_b32_e32 v7, 0x80
	s_and_saveexec_b64 s[10:11], vcc
	s_cbranch_execz .LBB9_669
; %bb.664:
	s_mov_b32 s12, 0x3bffffff
	v_cmp_lt_u32_e32 vcc, s12, v6
	s_mov_b64 s[12:13], 0
                                        ; implicit-def: $vgpr6
	s_and_saveexec_b64 s[14:15], vcc
	s_xor_b64 s[14:15], exec, s[14:15]
	s_cbranch_execz .LBB9_841
; %bb.665:
	v_bfe_u32 v6, v5, 20, 1
	s_mov_b32 s17, 0x487ffff
	v_add3_u32 v6, v5, v6, s17
	s_mov_b64 s[12:13], exec
	v_lshrrev_b32_e32 v6, 20, v6
	s_or_saveexec_b64 s[14:15], s[14:15]
                                        ; implicit-def: $sgpr17
	s_xor_b64 exec, exec, s[14:15]
	s_cbranch_execnz .LBB9_842
.LBB9_666:
	s_or_b64 exec, exec, s[14:15]
	v_mov_b32_e32 v7, s17
	s_and_saveexec_b64 s[14:15], s[12:13]
.LBB9_667:
	v_lshrrev_b32_e32 v5, 24, v5
	s_movk_i32 s12, 0x80
	v_and_or_b32 v7, v5, s12, v6
.LBB9_668:
	s_or_b64 exec, exec, s[14:15]
.LBB9_669:
	s_or_b64 exec, exec, s[10:11]
	global_store_byte v[2:3], v7, off
.LBB9_670:
	s_mov_b64 s[10:11], -1
.LBB9_671:
	s_mov_b64 s[12:13], 0
.LBB9_672:
	s_and_b64 vcc, exec, s[12:13]
	s_cbranch_vccz .LBB9_712
; %bb.673:
	v_mov_b32_e32 v5, 22
	v_cmp_gt_i16_sdwa s[12:13], v46, v5 src0_sel:BYTE_0 src1_sel:DWORD
	s_mov_b64 s[8:9], -1
	s_and_b64 vcc, exec, s[12:13]
	s_cbranch_vccz .LBB9_705
; %bb.674:
	v_mov_b32_e32 v5, 24
	v_cmp_lt_i16_sdwa s[10:11], v46, v5 src0_sel:BYTE_0 src1_sel:DWORD
	s_and_b64 vcc, exec, s[10:11]
	s_cbranch_vccnz .LBB9_694
; %bb.675:
	v_cmp_gt_i16_sdwa s[10:11], v46, v5 src0_sel:BYTE_0 src1_sel:DWORD
	s_and_b64 vcc, exec, s[10:11]
	s_cbranch_vccz .LBB9_683
; %bb.676:
	v_cvt_f32_f64_e32 v5, v[40:41]
	v_and_b32_e32 v6, 0x7fffffff, v5
	s_mov_b32 s8, 0x47800000
	v_cmp_gt_u32_e32 vcc, s8, v6
	v_mov_b32_e32 v7, 0x80
	s_and_saveexec_b64 s[8:9], vcc
	s_cbranch_execz .LBB9_682
; %bb.677:
	s_mov_b32 s10, 0x37ffffff
	v_cmp_lt_u32_e32 vcc, s10, v6
	s_mov_b64 s[10:11], 0
                                        ; implicit-def: $vgpr6
	s_and_saveexec_b64 s[12:13], vcc
	s_xor_b64 s[12:13], exec, s[12:13]
	s_cbranch_execz .LBB9_845
; %bb.678:
	v_bfe_u32 v6, v5, 21, 1
	s_mov_b32 s14, 0x88fffff
	v_add3_u32 v6, v5, v6, s14
	s_mov_b64 s[10:11], exec
	v_lshrrev_b32_e32 v6, 21, v6
	s_or_saveexec_b64 s[12:13], s[12:13]
                                        ; implicit-def: $sgpr14
	s_xor_b64 exec, exec, s[12:13]
	s_cbranch_execnz .LBB9_846
.LBB9_679:
	s_or_b64 exec, exec, s[12:13]
	v_mov_b32_e32 v7, s14
	s_and_saveexec_b64 s[12:13], s[10:11]
.LBB9_680:
	v_lshrrev_b32_e32 v5, 24, v5
	s_movk_i32 s10, 0x80
	v_and_or_b32 v7, v5, s10, v6
.LBB9_681:
	s_or_b64 exec, exec, s[12:13]
.LBB9_682:
	s_or_b64 exec, exec, s[8:9]
	s_mov_b64 s[8:9], 0
	global_store_byte v[2:3], v7, off
.LBB9_683:
	s_and_b64 vcc, exec, s[8:9]
	s_cbranch_vccz .LBB9_693
; %bb.684:
	v_cvt_f32_f64_e32 v5, v[40:41]
	v_and_b32_e32 v7, 0x7fffffff, v5
	s_mov_b32 s8, 0x43f00000
	v_cmp_gt_u32_e32 vcc, s8, v7
                                        ; implicit-def: $vgpr6
	s_and_saveexec_b64 s[8:9], vcc
	s_xor_b64 s[8:9], exec, s[8:9]
	s_cbranch_execz .LBB9_690
; %bb.685:
	s_mov_b32 s10, 0x3c7fffff
	v_cmp_lt_u32_e32 vcc, s10, v7
                                        ; implicit-def: $vgpr6
	s_and_saveexec_b64 s[10:11], vcc
	s_xor_b64 s[10:11], exec, s[10:11]
; %bb.686:
	v_bfe_u32 v6, v5, 20, 1
	s_mov_b32 s12, 0x407ffff
	v_add3_u32 v6, v5, v6, s12
	v_lshrrev_b32_e32 v7, 20, v6
	v_and_b32_e32 v6, 0xff00000, v6
	s_mov_b32 s12, 0x7f00000
	v_mov_b32_e32 v8, 0x7e
	v_cmp_ne_u32_e32 vcc, s12, v6
	v_cndmask_b32_e32 v6, v8, v7, vcc
; %bb.687:
	s_andn2_saveexec_b64 s[10:11], s[10:11]
; %bb.688:
	s_mov_b32 s12, 0x46800000
	v_add_f32_e64 v6, |v5|, s12
; %bb.689:
	s_or_b64 exec, exec, s[10:11]
                                        ; implicit-def: $vgpr7
.LBB9_690:
	s_andn2_saveexec_b64 s[8:9], s[8:9]
; %bb.691:
	s_mov_b32 s10, 0x7f800000
	v_mov_b32_e32 v6, 0x7e
	v_mov_b32_e32 v8, 0x7f
	v_cmp_lt_u32_e32 vcc, s10, v7
	v_cndmask_b32_e32 v6, v6, v8, vcc
; %bb.692:
	s_or_b64 exec, exec, s[8:9]
	v_lshrrev_b32_e32 v5, 24, v5
	s_movk_i32 s8, 0x80
	v_and_or_b32 v5, v5, s8, v6
	global_store_byte v[2:3], v5, off
.LBB9_693:
	s_mov_b64 s[8:9], 0
.LBB9_694:
	s_andn2_b64 vcc, exec, s[8:9]
	s_cbranch_vccnz .LBB9_704
; %bb.695:
	v_cvt_f32_f64_e32 v5, v[40:41]
	v_and_b32_e32 v7, 0x7fffffff, v5
	s_mov_b32 s8, 0x47800000
	v_cmp_gt_u32_e32 vcc, s8, v7
                                        ; implicit-def: $vgpr6
	s_and_saveexec_b64 s[8:9], vcc
	s_xor_b64 s[8:9], exec, s[8:9]
	s_cbranch_execz .LBB9_701
; %bb.696:
	s_mov_b32 s10, 0x387fffff
	v_cmp_lt_u32_e32 vcc, s10, v7
                                        ; implicit-def: $vgpr6
	s_and_saveexec_b64 s[10:11], vcc
	s_xor_b64 s[10:11], exec, s[10:11]
; %bb.697:
	v_bfe_u32 v6, v5, 21, 1
	s_mov_b32 s12, 0x80fffff
	v_add3_u32 v6, v5, v6, s12
	v_lshrrev_b32_e32 v6, 21, v6
; %bb.698:
	s_andn2_saveexec_b64 s[10:11], s[10:11]
; %bb.699:
	s_mov_b32 s12, 0x43000000
	v_add_f32_e64 v6, |v5|, s12
; %bb.700:
	s_or_b64 exec, exec, s[10:11]
                                        ; implicit-def: $vgpr7
.LBB9_701:
	s_andn2_saveexec_b64 s[8:9], s[8:9]
; %bb.702:
	s_mov_b32 s10, 0x7f800000
	v_mov_b32_e32 v6, 0x7c
	v_mov_b32_e32 v8, 0x7f
	v_cmp_lt_u32_e32 vcc, s10, v7
	v_cndmask_b32_e32 v6, v6, v8, vcc
; %bb.703:
	s_or_b64 exec, exec, s[8:9]
	v_lshrrev_b32_e32 v5, 24, v5
	s_movk_i32 s8, 0x80
	v_and_or_b32 v5, v5, s8, v6
	global_store_byte v[2:3], v5, off
.LBB9_704:
	s_mov_b64 s[8:9], 0
	s_mov_b64 s[10:11], -1
.LBB9_705:
	s_andn2_b64 vcc, exec, s[8:9]
	s_mov_b64 s[8:9], 0
	s_cbranch_vccnz .LBB9_712
; %bb.706:
	v_mov_b32_e32 v5, 14
	v_cmp_gt_i16_sdwa s[8:9], v46, v5 src0_sel:BYTE_0 src1_sel:DWORD
	s_mov_b64 s[12:13], -1
	s_and_b64 vcc, exec, s[8:9]
	s_cbranch_vccz .LBB9_710
; %bb.707:
	v_mov_b32_e32 v5, 15
	v_cmp_eq_u16_sdwa s[8:9], v46, v5 src0_sel:BYTE_0 src1_sel:DWORD
	s_mov_b64 s[4:5], -1
	s_and_b64 vcc, exec, s[8:9]
	s_cbranch_vccz .LBB9_709
; %bb.708:
	v_cvt_f32_f64_e32 v5, v[40:41]
	v_bfe_u32 v6, v5, 16, 1
	s_movk_i32 s4, 0x7fff
	v_add3_u32 v6, v5, v6, s4
	v_lshrrev_b32_e32 v6, 16, v6
	v_mov_b32_e32 v7, 0x7fc0
	v_cmp_o_f32_e32 vcc, v5, v5
	v_cndmask_b32_e32 v5, v7, v6, vcc
	global_store_short v[2:3], v5, off
	s_mov_b64 s[4:5], 0
	s_mov_b64 s[10:11], -1
.LBB9_709:
	s_mov_b64 s[12:13], 0
.LBB9_710:
	s_mov_b64 s[8:9], 0
	s_and_b64 vcc, exec, s[12:13]
	s_cbranch_vccz .LBB9_712
; %bb.711:
	v_mov_b32_e32 v5, 11
	v_cmp_ne_u16_sdwa s[4:5], v46, v5 src0_sel:BYTE_0 src1_sel:DWORD
	s_mov_b64 s[8:9], -1
.LBB9_712:
	s_and_b64 vcc, exec, s[4:5]
	s_cbranch_vccnz .LBB9_844
; %bb.713:
	s_andn2_b64 vcc, exec, s[8:9]
	s_cbranch_vccnz .LBB9_715
.LBB9_714:
	v_cmp_neq_f64_e32 vcc, 0, v[40:41]
	v_cndmask_b32_e64 v5, 0, 1, vcc
	s_mov_b64 s[10:11], -1
	global_store_byte v[2:3], v5, off
.LBB9_715:
	s_branch .LBB9_636
.LBB9_716:
	v_mov_b32_e32 v5, 5
	v_cmp_lt_i16_sdwa s[8:9], v46, v5 src0_sel:BYTE_0 src1_sel:DWORD
	s_mov_b64 s[4:5], -1
	s_and_b64 vcc, exec, s[8:9]
	s_cbranch_vccnz .LBB9_737
; %bb.717:
	v_mov_b32_e32 v5, 8
	v_cmp_lt_i16_sdwa s[8:9], v46, v5 src0_sel:BYTE_0 src1_sel:DWORD
	s_and_b64 vcc, exec, s[8:9]
	s_cbranch_vccnz .LBB9_727
; %bb.718:
	v_mov_b32_e32 v5, 9
	v_cmp_lt_i16_sdwa s[8:9], v46, v5 src0_sel:BYTE_0 src1_sel:DWORD
	s_and_b64 vcc, exec, s[8:9]
	s_cbranch_vccnz .LBB9_724
; %bb.719:
	v_cmp_gt_i16_sdwa s[8:9], v46, v5 src0_sel:BYTE_0 src1_sel:DWORD
	s_and_b64 vcc, exec, s[8:9]
	s_cbranch_vccz .LBB9_721
; %bb.720:
	v_mov_b32_e32 v42, 0
	v_mov_b32_e32 v43, v42
	global_store_dwordx4 v[2:3], v[40:43], off
	s_mov_b64 s[4:5], 0
.LBB9_721:
	s_andn2_b64 vcc, exec, s[4:5]
	s_cbranch_vccnz .LBB9_723
; %bb.722:
	v_cvt_f32_f64_e32 v6, v[40:41]
	v_mov_b32_e32 v7, 0
	global_store_dwordx2 v[2:3], v[6:7], off
.LBB9_723:
	s_mov_b64 s[4:5], 0
.LBB9_724:
	s_andn2_b64 vcc, exec, s[4:5]
	s_cbranch_vccnz .LBB9_726
; %bb.725:
	v_cvt_f32_f64_e32 v5, v[40:41]
	v_cvt_f16_f32_e32 v5, v5
	global_store_dword v[2:3], v5, off
.LBB9_726:
	s_mov_b64 s[4:5], 0
.LBB9_727:
	s_andn2_b64 vcc, exec, s[4:5]
	s_cbranch_vccnz .LBB9_736
; %bb.728:
	v_mov_b32_e32 v5, 6
	v_cmp_lt_i16_sdwa s[8:9], v46, v5 src0_sel:BYTE_0 src1_sel:DWORD
	s_mov_b64 s[4:5], -1
	s_and_b64 vcc, exec, s[8:9]
	s_cbranch_vccnz .LBB9_734
; %bb.729:
	v_cmp_gt_i16_sdwa s[8:9], v46, v5 src0_sel:BYTE_0 src1_sel:DWORD
	s_and_b64 vcc, exec, s[8:9]
	s_cbranch_vccz .LBB9_731
; %bb.730:
	global_store_dwordx2 v[2:3], v[40:41], off
	s_mov_b64 s[4:5], 0
.LBB9_731:
	s_andn2_b64 vcc, exec, s[4:5]
	s_cbranch_vccnz .LBB9_733
; %bb.732:
	v_cvt_f32_f64_e32 v5, v[40:41]
	global_store_dword v[2:3], v5, off
.LBB9_733:
	s_mov_b64 s[4:5], 0
.LBB9_734:
	s_andn2_b64 vcc, exec, s[4:5]
	s_cbranch_vccnz .LBB9_736
; %bb.735:
	v_cvt_f32_f64_e32 v5, v[40:41]
	v_cvt_f16_f32_e32 v5, v5
	global_store_short v[2:3], v5, off
.LBB9_736:
	s_mov_b64 s[4:5], 0
.LBB9_737:
	s_andn2_b64 vcc, exec, s[4:5]
	s_cbranch_vccnz .LBB9_753
; %bb.738:
	v_mov_b32_e32 v5, 2
	v_cmp_lt_i16_sdwa s[8:9], v46, v5 src0_sel:BYTE_0 src1_sel:DWORD
	s_mov_b64 s[4:5], -1
	s_and_b64 vcc, exec, s[8:9]
	s_cbranch_vccnz .LBB9_748
; %bb.739:
	v_mov_b32_e32 v5, 3
	v_cmp_lt_i16_sdwa s[8:9], v46, v5 src0_sel:BYTE_0 src1_sel:DWORD
	s_and_b64 vcc, exec, s[8:9]
	s_cbranch_vccnz .LBB9_745
; %bb.740:
	v_cmp_gt_i16_sdwa s[8:9], v46, v5 src0_sel:BYTE_0 src1_sel:DWORD
	s_and_b64 vcc, exec, s[8:9]
	s_cbranch_vccz .LBB9_742
; %bb.741:
	v_trunc_f64_e32 v[6:7], v[40:41]
	s_movk_i32 s4, 0xffe0
	v_ldexp_f64 v[8:9], v[6:7], s4
	v_floor_f64_e32 v[8:9], v[8:9]
	v_fmac_f64_e32 v[6:7], 0xc1f00000, v[8:9]
	v_cvt_i32_f64_e32 v11, v[8:9]
	v_cvt_u32_f64_e32 v10, v[6:7]
	global_store_dwordx2 v[2:3], v[10:11], off
	s_mov_b64 s[4:5], 0
.LBB9_742:
	s_andn2_b64 vcc, exec, s[4:5]
	s_cbranch_vccnz .LBB9_744
; %bb.743:
	v_cvt_i32_f64_e32 v5, v[40:41]
	global_store_dword v[2:3], v5, off
.LBB9_744:
	s_mov_b64 s[4:5], 0
.LBB9_745:
	s_andn2_b64 vcc, exec, s[4:5]
	s_cbranch_vccnz .LBB9_747
; %bb.746:
	v_cvt_i32_f64_e32 v5, v[40:41]
	global_store_short v[2:3], v5, off
.LBB9_747:
	s_mov_b64 s[4:5], 0
.LBB9_748:
	s_andn2_b64 vcc, exec, s[4:5]
	s_cbranch_vccnz .LBB9_753
; %bb.749:
	v_mov_b32_e32 v5, 0
	v_cmp_gt_i16_sdwa s[8:9], v46, v5 src0_sel:BYTE_0 src1_sel:DWORD
	s_mov_b64 s[4:5], -1
	s_and_b64 vcc, exec, s[8:9]
	s_cbranch_vccz .LBB9_751
; %bb.750:
	v_cvt_i32_f64_e32 v5, v[40:41]
	global_store_byte v[2:3], v5, off
	s_mov_b64 s[4:5], 0
.LBB9_751:
	s_andn2_b64 vcc, exec, s[4:5]
	s_cbranch_vccnz .LBB9_753
; %bb.752:
	v_trunc_f64_e32 v[6:7], v[40:41]
	s_movk_i32 s4, 0xffe0
	v_ldexp_f64 v[8:9], v[6:7], s4
	v_floor_f64_e32 v[8:9], v[8:9]
	v_fmac_f64_e32 v[6:7], 0xc1f00000, v[8:9]
	v_cvt_u32_f64_e32 v5, v[6:7]
	global_store_byte v[2:3], v5, off
.LBB9_753:
.LBB9_754:
	v_add_u32_e32 v4, s16, v4
	v_ashrrev_i32_e32 v3, 31, v4
	v_mov_b32_e32 v5, s37
	v_add_co_u32_e32 v2, vcc, s36, v4
	v_addc_co_u32_e32 v3, vcc, v5, v3, vcc
	v_mov_b32_e32 v5, 11
	v_cmp_lt_i16_sdwa s[4:5], v46, v5 src0_sel:BYTE_0 src1_sel:DWORD
	s_and_b64 vcc, exec, s[4:5]
	s_cbranch_vccnz .LBB9_761
; %bb.755:
	v_mov_b32_e32 v5, 25
	v_cmp_gt_i16_sdwa s[4:5], v46, v5 src0_sel:BYTE_0 src1_sel:DWORD
	s_mov_b64 s[12:13], -1
	s_mov_b64 s[8:9], 0
	s_and_b64 vcc, exec, s[4:5]
	s_mov_b64 s[10:11], 0
	s_mov_b64 s[4:5], 0
	s_cbranch_vccz .LBB9_875
; %bb.756:
	v_mov_b32_e32 v5, 28
	v_cmp_gt_i16_sdwa s[4:5], v46, v5 src0_sel:BYTE_0 src1_sel:DWORD
	s_and_b64 vcc, exec, s[4:5]
	s_cbranch_vccz .LBB9_840
; %bb.757:
	v_mov_b32_e32 v5, 43
	v_cmp_gt_i16_sdwa s[4:5], v46, v5 src0_sel:BYTE_0 src1_sel:DWORD
	s_and_b64 vcc, exec, s[4:5]
	;; [unrolled: 5-line block ×3, first 2 shown]
	s_cbranch_vccz .LBB9_847
; %bb.759:
	v_mov_b32_e32 v5, 46
	v_cmp_eq_u16_sdwa s[10:11], v46, v5 src0_sel:BYTE_0 src1_sel:DWORD
	s_mov_b64 s[4:5], -1
	s_mov_b64 s[12:13], 0
	s_and_b64 vcc, exec, s[10:11]
	s_mov_b64 s[10:11], 0
	s_cbranch_vccz .LBB9_848
; %bb.760:
	v_cvt_f32_f64_e32 v5, v[38:39]
	v_bfe_u32 v6, v5, 16, 1
	s_movk_i32 s4, 0x7fff
	v_add3_u32 v6, v5, v6, s4
	v_lshrrev_b32_e32 v6, 16, v6
	v_mov_b32_e32 v7, 0x7fc0
	v_cmp_o_f32_e32 vcc, v5, v5
	v_cndmask_b32_e32 v5, v7, v6, vcc
	global_store_dword v[2:3], v5, off
	s_mov_b64 s[4:5], 0
	s_mov_b64 s[10:11], -1
	s_branch .LBB9_848
.LBB9_761:
	s_mov_b64 s[10:11], 0
	s_cbranch_execnz .LBB9_919
.LBB9_762:
	s_andn2_b64 vcc, exec, s[10:11]
	s_cbranch_vccnz .LBB9_957
.LBB9_763:
	v_add_u32_e32 v2, s16, v4
	v_ashrrev_i32_e32 v3, 31, v2
	v_mov_b32_e32 v5, s37
	v_add_co_u32_e32 v4, vcc, s36, v2
	v_addc_co_u32_e32 v5, vcc, v5, v3, vcc
	v_and_b32_e32 v6, 0xff, v46
	v_cmp_gt_i16_e32 vcc, 11, v6
	s_cbranch_vccnz .LBB9_839
; %bb.764:
	v_cmp_lt_i16_e32 vcc, 25, v6
	s_mov_b64 s[10:11], -1
	s_mov_b64 s[8:9], 0
	s_mov_b64 s[4:5], 0
	s_cbranch_vccz .LBB9_797
; %bb.765:
	v_cmp_lt_i16_e32 vcc, 28, v6
	s_cbranch_vccz .LBB9_781
; %bb.766:
	v_cmp_lt_i16_e32 vcc, 43, v6
	;; [unrolled: 3-line block ×3, first 2 shown]
	s_cbranch_vccz .LBB9_771
; %bb.768:
	v_cmp_eq_u16_e32 vcc, 46, v6
	s_mov_b64 s[4:5], -1
	s_cbranch_vccz .LBB9_770
; %bb.769:
	v_cvt_f32_f64_e32 v2, v[0:1]
	v_bfe_u32 v3, v2, 16, 1
	s_movk_i32 s4, 0x7fff
	v_add3_u32 v3, v2, v3, s4
	v_lshrrev_b32_e32 v3, 16, v3
	v_mov_b32_e32 v7, 0x7fc0
	v_cmp_o_f32_e32 vcc, v2, v2
	v_cndmask_b32_e32 v2, v7, v3, vcc
	global_store_dword v[4:5], v2, off
	s_mov_b64 s[4:5], 0
.LBB9_770:
	s_mov_b64 s[10:11], 0
.LBB9_771:
	s_and_b64 vcc, exec, s[10:11]
	s_cbranch_vccz .LBB9_776
; %bb.772:
	v_cmp_eq_u16_e32 vcc, 44, v6
	s_mov_b64 s[4:5], -1
	s_cbranch_vccz .LBB9_776
; %bb.773:
	v_cvt_f32_f64_e32 v2, v[0:1]
	v_bfe_u32 v3, v2, 23, 8
	s_movk_i32 s4, 0xff
	v_cmp_ne_u32_e32 vcc, s4, v3
	v_mov_b32_e32 v7, 0xff
	s_and_saveexec_b64 s[10:11], vcc
; %bb.774:
	s_mov_b32 s4, 0x3fffff
	v_lshrrev_b32_e32 v7, 23, v2
	v_and_b32_e32 v8, 0x400000, v2
	v_and_or_b32 v2, v2, s4, v3
	v_cmp_ne_u32_e32 vcc, 0, v8
	v_cmp_ne_u32_e64 s[4:5], 0, v2
	s_and_b64 s[4:5], vcc, s[4:5]
	v_cndmask_b32_e64 v2, 0, 1, s[4:5]
	v_add_u32_e32 v7, v7, v2
; %bb.775:
	s_or_b64 exec, exec, s[10:11]
	s_mov_b64 s[4:5], 0
	global_store_byte v[4:5], v7, off
.LBB9_776:
	s_mov_b64 s[10:11], 0
.LBB9_777:
	s_and_b64 vcc, exec, s[10:11]
	s_cbranch_vccz .LBB9_780
; %bb.778:
	v_cmp_eq_u16_e32 vcc, 29, v6
	s_mov_b64 s[4:5], -1
	s_cbranch_vccz .LBB9_780
; %bb.779:
	v_trunc_f64_e32 v[2:3], v[0:1]
	s_movk_i32 s4, 0xffe0
	v_ldexp_f64 v[8:9], v[2:3], s4
	v_floor_f64_e32 v[8:9], v[8:9]
	v_fmac_f64_e32 v[2:3], 0xc1f00000, v[8:9]
	v_cvt_u32_f64_e32 v11, v[8:9]
	v_cvt_u32_f64_e32 v10, v[2:3]
	global_store_dwordx2 v[4:5], v[10:11], off
	s_mov_b64 s[4:5], 0
.LBB9_780:
	s_mov_b64 s[10:11], 0
.LBB9_781:
	s_and_b64 vcc, exec, s[10:11]
	s_cbranch_vccz .LBB9_796
; %bb.782:
	v_cmp_gt_i16_e32 vcc, 27, v6
	s_mov_b64 s[10:11], -1
	s_cbranch_vccnz .LBB9_788
; %bb.783:
	v_cmp_lt_i16_e32 vcc, 27, v6
	v_cvt_u32_f64_e32 v2, v[0:1]
	s_cbranch_vccz .LBB9_785
; %bb.784:
	global_store_dword v[4:5], v2, off
	s_mov_b64 s[10:11], 0
.LBB9_785:
	s_andn2_b64 vcc, exec, s[10:11]
	s_cbranch_vccnz .LBB9_787
; %bb.786:
	global_store_short v[4:5], v2, off
.LBB9_787:
	s_mov_b64 s[10:11], 0
.LBB9_788:
	s_andn2_b64 vcc, exec, s[10:11]
	s_cbranch_vccnz .LBB9_796
; %bb.789:
	v_cvt_f32_f64_e32 v2, v[0:1]
	v_and_b32_e32 v3, 0x7fffffff, v2
	s_mov_b32 s10, 0x43800000
	v_cmp_gt_u32_e32 vcc, s10, v3
	v_mov_b32_e32 v7, 0x80
	s_and_saveexec_b64 s[10:11], vcc
	s_cbranch_execz .LBB9_795
; %bb.790:
	s_mov_b32 s12, 0x3bffffff
	v_cmp_lt_u32_e32 vcc, s12, v3
	s_mov_b64 s[12:13], 0
                                        ; implicit-def: $vgpr3
	s_and_saveexec_b64 s[14:15], vcc
	s_xor_b64 s[14:15], exec, s[14:15]
	s_cbranch_execz .LBB9_1007
; %bb.791:
	v_bfe_u32 v3, v2, 20, 1
	s_mov_b32 s16, 0x487ffff
	v_add3_u32 v3, v2, v3, s16
	s_mov_b64 s[12:13], exec
	v_lshrrev_b32_e32 v3, 20, v3
	s_or_saveexec_b64 s[14:15], s[14:15]
                                        ; implicit-def: $sgpr16
	s_xor_b64 exec, exec, s[14:15]
	s_cbranch_execnz .LBB9_1008
.LBB9_792:
	s_or_b64 exec, exec, s[14:15]
	v_mov_b32_e32 v7, s16
	s_and_saveexec_b64 s[14:15], s[12:13]
.LBB9_793:
	v_lshrrev_b32_e32 v2, 24, v2
	s_movk_i32 s12, 0x80
	v_and_or_b32 v7, v2, s12, v3
.LBB9_794:
	s_or_b64 exec, exec, s[14:15]
.LBB9_795:
	s_or_b64 exec, exec, s[10:11]
	global_store_byte v[4:5], v7, off
.LBB9_796:
	s_mov_b64 s[10:11], 0
.LBB9_797:
	s_and_b64 vcc, exec, s[10:11]
	s_cbranch_vccz .LBB9_837
; %bb.798:
	v_cmp_lt_i16_e32 vcc, 22, v6
	s_mov_b64 s[8:9], -1
	s_cbranch_vccz .LBB9_830
; %bb.799:
	v_cmp_gt_i16_e32 vcc, 24, v6
	s_cbranch_vccnz .LBB9_819
; %bb.800:
	v_cmp_lt_i16_e32 vcc, 24, v6
	s_cbranch_vccz .LBB9_808
; %bb.801:
	v_cvt_f32_f64_e32 v2, v[0:1]
	v_and_b32_e32 v3, 0x7fffffff, v2
	s_mov_b32 s8, 0x47800000
	v_cmp_gt_u32_e32 vcc, s8, v3
	v_mov_b32_e32 v7, 0x80
	s_and_saveexec_b64 s[8:9], vcc
	s_cbranch_execz .LBB9_807
; %bb.802:
	s_mov_b32 s10, 0x37ffffff
	v_cmp_lt_u32_e32 vcc, s10, v3
	s_mov_b64 s[10:11], 0
                                        ; implicit-def: $vgpr3
	s_and_saveexec_b64 s[12:13], vcc
	s_xor_b64 s[12:13], exec, s[12:13]
	s_cbranch_execz .LBB9_1016
; %bb.803:
	v_bfe_u32 v3, v2, 21, 1
	s_mov_b32 s14, 0x88fffff
	v_add3_u32 v3, v2, v3, s14
	s_mov_b64 s[10:11], exec
	v_lshrrev_b32_e32 v3, 21, v3
	s_or_saveexec_b64 s[12:13], s[12:13]
                                        ; implicit-def: $sgpr14
	s_xor_b64 exec, exec, s[12:13]
	s_cbranch_execnz .LBB9_1017
.LBB9_804:
	s_or_b64 exec, exec, s[12:13]
	v_mov_b32_e32 v7, s14
	s_and_saveexec_b64 s[12:13], s[10:11]
.LBB9_805:
	v_lshrrev_b32_e32 v2, 24, v2
	s_movk_i32 s10, 0x80
	v_and_or_b32 v7, v2, s10, v3
.LBB9_806:
	s_or_b64 exec, exec, s[12:13]
.LBB9_807:
	s_or_b64 exec, exec, s[8:9]
	s_mov_b64 s[8:9], 0
	global_store_byte v[4:5], v7, off
.LBB9_808:
	s_and_b64 vcc, exec, s[8:9]
	s_cbranch_vccz .LBB9_818
; %bb.809:
	v_cvt_f32_f64_e32 v2, v[0:1]
	v_and_b32_e32 v7, 0x7fffffff, v2
	s_mov_b32 s8, 0x43f00000
	v_cmp_gt_u32_e32 vcc, s8, v7
                                        ; implicit-def: $vgpr3
	s_and_saveexec_b64 s[8:9], vcc
	s_xor_b64 s[8:9], exec, s[8:9]
	s_cbranch_execz .LBB9_815
; %bb.810:
	s_mov_b32 s10, 0x3c7fffff
	v_cmp_lt_u32_e32 vcc, s10, v7
                                        ; implicit-def: $vgpr3
	s_and_saveexec_b64 s[10:11], vcc
	s_xor_b64 s[10:11], exec, s[10:11]
; %bb.811:
	v_bfe_u32 v3, v2, 20, 1
	s_mov_b32 s12, 0x407ffff
	v_add3_u32 v3, v2, v3, s12
	v_lshrrev_b32_e32 v7, 20, v3
	v_and_b32_e32 v3, 0xff00000, v3
	s_mov_b32 s12, 0x7f00000
	v_mov_b32_e32 v8, 0x7e
	v_cmp_ne_u32_e32 vcc, s12, v3
	v_cndmask_b32_e32 v3, v8, v7, vcc
; %bb.812:
	s_andn2_saveexec_b64 s[10:11], s[10:11]
; %bb.813:
	s_mov_b32 s12, 0x46800000
	v_add_f32_e64 v3, |v2|, s12
; %bb.814:
	s_or_b64 exec, exec, s[10:11]
                                        ; implicit-def: $vgpr7
.LBB9_815:
	s_andn2_saveexec_b64 s[8:9], s[8:9]
; %bb.816:
	s_mov_b32 s10, 0x7f800000
	v_mov_b32_e32 v3, 0x7e
	v_mov_b32_e32 v8, 0x7f
	v_cmp_lt_u32_e32 vcc, s10, v7
	v_cndmask_b32_e32 v3, v3, v8, vcc
; %bb.817:
	s_or_b64 exec, exec, s[8:9]
	v_lshrrev_b32_e32 v2, 24, v2
	s_movk_i32 s8, 0x80
	v_and_or_b32 v2, v2, s8, v3
	global_store_byte v[4:5], v2, off
.LBB9_818:
	s_mov_b64 s[8:9], 0
.LBB9_819:
	s_andn2_b64 vcc, exec, s[8:9]
	s_cbranch_vccnz .LBB9_829
; %bb.820:
	v_cvt_f32_f64_e32 v2, v[0:1]
	v_and_b32_e32 v7, 0x7fffffff, v2
	s_mov_b32 s8, 0x47800000
	v_cmp_gt_u32_e32 vcc, s8, v7
                                        ; implicit-def: $vgpr3
	s_and_saveexec_b64 s[8:9], vcc
	s_xor_b64 s[8:9], exec, s[8:9]
	s_cbranch_execz .LBB9_826
; %bb.821:
	s_mov_b32 s10, 0x387fffff
	v_cmp_lt_u32_e32 vcc, s10, v7
                                        ; implicit-def: $vgpr3
	s_and_saveexec_b64 s[10:11], vcc
	s_xor_b64 s[10:11], exec, s[10:11]
; %bb.822:
	v_bfe_u32 v3, v2, 21, 1
	s_mov_b32 s12, 0x80fffff
	v_add3_u32 v3, v2, v3, s12
	v_lshrrev_b32_e32 v3, 21, v3
; %bb.823:
	s_andn2_saveexec_b64 s[10:11], s[10:11]
; %bb.824:
	s_mov_b32 s12, 0x43000000
	v_add_f32_e64 v3, |v2|, s12
; %bb.825:
	s_or_b64 exec, exec, s[10:11]
                                        ; implicit-def: $vgpr7
.LBB9_826:
	s_andn2_saveexec_b64 s[8:9], s[8:9]
; %bb.827:
	s_mov_b32 s10, 0x7f800000
	v_mov_b32_e32 v3, 0x7c
	v_mov_b32_e32 v8, 0x7f
	v_cmp_lt_u32_e32 vcc, s10, v7
	v_cndmask_b32_e32 v3, v3, v8, vcc
; %bb.828:
	s_or_b64 exec, exec, s[8:9]
	v_lshrrev_b32_e32 v2, 24, v2
	s_movk_i32 s8, 0x80
	v_and_or_b32 v2, v2, s8, v3
	global_store_byte v[4:5], v2, off
.LBB9_829:
	s_mov_b64 s[8:9], 0
.LBB9_830:
	s_andn2_b64 vcc, exec, s[8:9]
	s_mov_b64 s[8:9], 0
	s_cbranch_vccnz .LBB9_837
; %bb.831:
	v_cmp_lt_i16_e32 vcc, 14, v6
	s_mov_b64 s[10:11], -1
	s_cbranch_vccz .LBB9_835
; %bb.832:
	v_cmp_eq_u16_e32 vcc, 15, v6
	s_mov_b64 s[4:5], -1
	s_cbranch_vccz .LBB9_834
; %bb.833:
	v_cvt_f32_f64_e32 v2, v[0:1]
	v_bfe_u32 v3, v2, 16, 1
	s_movk_i32 s4, 0x7fff
	v_add3_u32 v3, v2, v3, s4
	v_lshrrev_b32_e32 v3, 16, v3
	v_mov_b32_e32 v7, 0x7fc0
	v_cmp_o_f32_e32 vcc, v2, v2
	v_cndmask_b32_e32 v2, v7, v3, vcc
	global_store_short v[4:5], v2, off
	s_mov_b64 s[4:5], 0
.LBB9_834:
	s_mov_b64 s[10:11], 0
.LBB9_835:
	s_and_b64 vcc, exec, s[10:11]
	s_cbranch_vccz .LBB9_837
; %bb.836:
	v_cmp_ne_u16_e64 s[4:5], 11, v6
	s_mov_b64 s[8:9], -1
.LBB9_837:
	s_and_b64 vcc, exec, s[4:5]
	s_cbranch_vccnz .LBB9_1011
.LBB9_838:
	s_mov_b64 s[4:5], 0
	s_branch .LBB9_958
.LBB9_839:
	s_mov_b64 s[8:9], 0
	s_mov_b64 s[4:5], -1
	s_branch .LBB9_958
.LBB9_840:
	s_mov_b64 s[4:5], 0
	s_branch .LBB9_858
.LBB9_841:
	s_or_saveexec_b64 s[14:15], s[14:15]
                                        ; implicit-def: $sgpr17
	s_xor_b64 exec, exec, s[14:15]
	s_cbranch_execz .LBB9_666
.LBB9_842:
	s_mov_b32 s17, 0x46000000
	v_add_f32_e64 v6, |v5|, s17
	v_and_b32_e32 v6, 0xff, v6
	v_cmp_ne_u32_e32 vcc, 0, v6
	s_andn2_b64 s[12:13], s[12:13], exec
	s_and_b64 s[18:19], vcc, exec
	s_mov_b32 s17, 0
	s_or_b64 s[12:13], s[12:13], s[18:19]
	s_or_b64 exec, exec, s[14:15]
	v_mov_b32_e32 v7, s17
	s_and_saveexec_b64 s[14:15], s[12:13]
	s_cbranch_execnz .LBB9_667
	s_branch .LBB9_668
.LBB9_843:
	s_mov_b64 s[4:5], 0
	s_branch .LBB9_854
.LBB9_844:
	s_trap 2
	s_or_b64 s[6:7], s[6:7], exec
	s_cbranch_execz .LBB9_714
	s_branch .LBB9_715
.LBB9_845:
	s_or_saveexec_b64 s[12:13], s[12:13]
                                        ; implicit-def: $sgpr14
	s_xor_b64 exec, exec, s[12:13]
	s_cbranch_execz .LBB9_679
.LBB9_846:
	s_mov_b32 s14, 0x42800000
	v_add_f32_e64 v6, |v5|, s14
	v_and_b32_e32 v6, 0xff, v6
	v_cmp_ne_u32_e32 vcc, 0, v6
	s_andn2_b64 s[10:11], s[10:11], exec
	s_and_b64 s[18:19], vcc, exec
	s_mov_b32 s14, 0
	s_or_b64 s[10:11], s[10:11], s[18:19]
	s_or_b64 exec, exec, s[12:13]
	v_mov_b32_e32 v7, s14
	s_and_saveexec_b64 s[12:13], s[10:11]
	s_cbranch_execnz .LBB9_680
	s_branch .LBB9_681
.LBB9_847:
	s_mov_b64 s[4:5], 0
.LBB9_848:
	s_and_b64 vcc, exec, s[12:13]
	s_cbranch_vccz .LBB9_853
; %bb.849:
	v_mov_b32_e32 v5, 44
	v_cmp_eq_u16_sdwa s[12:13], v46, v5 src0_sel:BYTE_0 src1_sel:DWORD
	s_mov_b64 s[4:5], -1
	s_and_b64 vcc, exec, s[12:13]
	s_cbranch_vccz .LBB9_853
; %bb.850:
	v_cvt_f32_f64_e32 v5, v[38:39]
	v_bfe_u32 v6, v5, 23, 8
	s_movk_i32 s4, 0xff
	v_cmp_ne_u32_e32 vcc, s4, v6
	v_mov_b32_e32 v7, 0xff
	s_and_saveexec_b64 s[10:11], vcc
; %bb.851:
	s_mov_b32 s4, 0x3fffff
	v_lshrrev_b32_e32 v7, 23, v5
	v_and_b32_e32 v8, 0x400000, v5
	v_and_or_b32 v5, v5, s4, v6
	v_cmp_ne_u32_e32 vcc, 0, v8
	v_cmp_ne_u32_e64 s[4:5], 0, v5
	s_and_b64 s[4:5], vcc, s[4:5]
	v_cndmask_b32_e64 v5, 0, 1, s[4:5]
	v_add_u32_e32 v7, v7, v5
; %bb.852:
	s_or_b64 exec, exec, s[10:11]
	s_mov_b64 s[4:5], 0
	s_mov_b64 s[10:11], -1
	global_store_byte v[2:3], v7, off
.LBB9_853:
	s_mov_b64 s[12:13], 0
.LBB9_854:
	s_and_b64 vcc, exec, s[12:13]
	s_cbranch_vccz .LBB9_857
; %bb.855:
	v_mov_b32_e32 v5, 29
	v_cmp_eq_u16_sdwa s[12:13], v46, v5 src0_sel:BYTE_0 src1_sel:DWORD
	s_mov_b64 s[4:5], -1
	s_and_b64 vcc, exec, s[12:13]
	s_cbranch_vccz .LBB9_857
; %bb.856:
	v_trunc_f64_e32 v[6:7], v[38:39]
	s_movk_i32 s4, 0xffe0
	v_ldexp_f64 v[8:9], v[6:7], s4
	v_floor_f64_e32 v[8:9], v[8:9]
	v_fmac_f64_e32 v[6:7], 0xc1f00000, v[8:9]
	v_cvt_u32_f64_e32 v11, v[8:9]
	v_cvt_u32_f64_e32 v10, v[6:7]
	global_store_dwordx2 v[2:3], v[10:11], off
	s_mov_b64 s[4:5], 0
	s_mov_b64 s[10:11], -1
.LBB9_857:
	s_mov_b64 s[12:13], 0
.LBB9_858:
	s_and_b64 vcc, exec, s[12:13]
	s_cbranch_vccz .LBB9_874
; %bb.859:
	v_mov_b32_e32 v5, 27
	v_cmp_lt_i16_sdwa s[12:13], v46, v5 src0_sel:BYTE_0 src1_sel:DWORD
	s_mov_b64 s[10:11], -1
	s_and_b64 vcc, exec, s[12:13]
	s_cbranch_vccnz .LBB9_865
; %bb.860:
	v_cmp_gt_i16_sdwa s[12:13], v46, v5 src0_sel:BYTE_0 src1_sel:DWORD
	s_and_b64 vcc, exec, s[12:13]
	v_cvt_u32_f64_e32 v5, v[38:39]
	s_cbranch_vccz .LBB9_862
; %bb.861:
	s_mov_b64 s[10:11], 0
	global_store_dword v[2:3], v5, off
.LBB9_862:
	s_andn2_b64 vcc, exec, s[10:11]
	s_cbranch_vccnz .LBB9_864
; %bb.863:
	global_store_short v[2:3], v5, off
.LBB9_864:
	s_mov_b64 s[10:11], 0
.LBB9_865:
	s_andn2_b64 vcc, exec, s[10:11]
	s_cbranch_vccnz .LBB9_873
; %bb.866:
	v_cvt_f32_f64_e32 v5, v[38:39]
	v_and_b32_e32 v6, 0x7fffffff, v5
	s_mov_b32 s10, 0x43800000
	v_cmp_gt_u32_e32 vcc, s10, v6
	v_mov_b32_e32 v7, 0x80
	s_and_saveexec_b64 s[10:11], vcc
	s_cbranch_execz .LBB9_872
; %bb.867:
	s_mov_b32 s12, 0x3bffffff
	v_cmp_lt_u32_e32 vcc, s12, v6
	s_mov_b64 s[12:13], 0
                                        ; implicit-def: $vgpr6
	s_and_saveexec_b64 s[14:15], vcc
	s_xor_b64 s[14:15], exec, s[14:15]
	s_cbranch_execz .LBB9_1002
; %bb.868:
	v_bfe_u32 v6, v5, 20, 1
	s_mov_b32 s17, 0x487ffff
	v_add3_u32 v6, v5, v6, s17
	s_mov_b64 s[12:13], exec
	v_lshrrev_b32_e32 v6, 20, v6
	s_or_saveexec_b64 s[14:15], s[14:15]
                                        ; implicit-def: $sgpr17
	s_xor_b64 exec, exec, s[14:15]
	s_cbranch_execnz .LBB9_1003
.LBB9_869:
	s_or_b64 exec, exec, s[14:15]
	v_mov_b32_e32 v7, s17
	s_and_saveexec_b64 s[14:15], s[12:13]
.LBB9_870:
	v_lshrrev_b32_e32 v5, 24, v5
	s_movk_i32 s12, 0x80
	v_and_or_b32 v7, v5, s12, v6
.LBB9_871:
	s_or_b64 exec, exec, s[14:15]
.LBB9_872:
	s_or_b64 exec, exec, s[10:11]
	global_store_byte v[2:3], v7, off
.LBB9_873:
	s_mov_b64 s[10:11], -1
.LBB9_874:
	s_mov_b64 s[12:13], 0
.LBB9_875:
	s_and_b64 vcc, exec, s[12:13]
	s_cbranch_vccz .LBB9_915
; %bb.876:
	v_mov_b32_e32 v5, 22
	v_cmp_gt_i16_sdwa s[12:13], v46, v5 src0_sel:BYTE_0 src1_sel:DWORD
	s_mov_b64 s[8:9], -1
	s_and_b64 vcc, exec, s[12:13]
	s_cbranch_vccz .LBB9_908
; %bb.877:
	v_mov_b32_e32 v5, 24
	v_cmp_lt_i16_sdwa s[10:11], v46, v5 src0_sel:BYTE_0 src1_sel:DWORD
	s_and_b64 vcc, exec, s[10:11]
	s_cbranch_vccnz .LBB9_897
; %bb.878:
	v_cmp_gt_i16_sdwa s[10:11], v46, v5 src0_sel:BYTE_0 src1_sel:DWORD
	s_and_b64 vcc, exec, s[10:11]
	s_cbranch_vccz .LBB9_886
; %bb.879:
	v_cvt_f32_f64_e32 v5, v[38:39]
	v_and_b32_e32 v6, 0x7fffffff, v5
	s_mov_b32 s8, 0x47800000
	v_cmp_gt_u32_e32 vcc, s8, v6
	v_mov_b32_e32 v7, 0x80
	s_and_saveexec_b64 s[8:9], vcc
	s_cbranch_execz .LBB9_885
; %bb.880:
	s_mov_b32 s10, 0x37ffffff
	v_cmp_lt_u32_e32 vcc, s10, v6
	s_mov_b64 s[10:11], 0
                                        ; implicit-def: $vgpr6
	s_and_saveexec_b64 s[12:13], vcc
	s_xor_b64 s[12:13], exec, s[12:13]
	s_cbranch_execz .LBB9_1009
; %bb.881:
	v_bfe_u32 v6, v5, 21, 1
	s_mov_b32 s14, 0x88fffff
	v_add3_u32 v6, v5, v6, s14
	s_mov_b64 s[10:11], exec
	v_lshrrev_b32_e32 v6, 21, v6
	s_or_saveexec_b64 s[12:13], s[12:13]
                                        ; implicit-def: $sgpr14
	s_xor_b64 exec, exec, s[12:13]
	s_cbranch_execnz .LBB9_1010
.LBB9_882:
	s_or_b64 exec, exec, s[12:13]
	v_mov_b32_e32 v7, s14
	s_and_saveexec_b64 s[12:13], s[10:11]
.LBB9_883:
	v_lshrrev_b32_e32 v5, 24, v5
	s_movk_i32 s10, 0x80
	v_and_or_b32 v7, v5, s10, v6
.LBB9_884:
	s_or_b64 exec, exec, s[12:13]
.LBB9_885:
	s_or_b64 exec, exec, s[8:9]
	s_mov_b64 s[8:9], 0
	global_store_byte v[2:3], v7, off
.LBB9_886:
	s_and_b64 vcc, exec, s[8:9]
	s_cbranch_vccz .LBB9_896
; %bb.887:
	v_cvt_f32_f64_e32 v5, v[38:39]
	v_and_b32_e32 v7, 0x7fffffff, v5
	s_mov_b32 s8, 0x43f00000
	v_cmp_gt_u32_e32 vcc, s8, v7
                                        ; implicit-def: $vgpr6
	s_and_saveexec_b64 s[8:9], vcc
	s_xor_b64 s[8:9], exec, s[8:9]
	s_cbranch_execz .LBB9_893
; %bb.888:
	s_mov_b32 s10, 0x3c7fffff
	v_cmp_lt_u32_e32 vcc, s10, v7
                                        ; implicit-def: $vgpr6
	s_and_saveexec_b64 s[10:11], vcc
	s_xor_b64 s[10:11], exec, s[10:11]
; %bb.889:
	v_bfe_u32 v6, v5, 20, 1
	s_mov_b32 s12, 0x407ffff
	v_add3_u32 v6, v5, v6, s12
	v_lshrrev_b32_e32 v7, 20, v6
	v_and_b32_e32 v6, 0xff00000, v6
	s_mov_b32 s12, 0x7f00000
	v_mov_b32_e32 v8, 0x7e
	v_cmp_ne_u32_e32 vcc, s12, v6
	v_cndmask_b32_e32 v6, v8, v7, vcc
; %bb.890:
	s_andn2_saveexec_b64 s[10:11], s[10:11]
; %bb.891:
	s_mov_b32 s12, 0x46800000
	v_add_f32_e64 v6, |v5|, s12
; %bb.892:
	s_or_b64 exec, exec, s[10:11]
                                        ; implicit-def: $vgpr7
.LBB9_893:
	s_andn2_saveexec_b64 s[8:9], s[8:9]
; %bb.894:
	s_mov_b32 s10, 0x7f800000
	v_mov_b32_e32 v6, 0x7e
	v_mov_b32_e32 v8, 0x7f
	v_cmp_lt_u32_e32 vcc, s10, v7
	v_cndmask_b32_e32 v6, v6, v8, vcc
; %bb.895:
	s_or_b64 exec, exec, s[8:9]
	v_lshrrev_b32_e32 v5, 24, v5
	s_movk_i32 s8, 0x80
	v_and_or_b32 v5, v5, s8, v6
	global_store_byte v[2:3], v5, off
.LBB9_896:
	s_mov_b64 s[8:9], 0
.LBB9_897:
	s_andn2_b64 vcc, exec, s[8:9]
	s_cbranch_vccnz .LBB9_907
; %bb.898:
	v_cvt_f32_f64_e32 v5, v[38:39]
	v_and_b32_e32 v7, 0x7fffffff, v5
	s_mov_b32 s8, 0x47800000
	v_cmp_gt_u32_e32 vcc, s8, v7
                                        ; implicit-def: $vgpr6
	s_and_saveexec_b64 s[8:9], vcc
	s_xor_b64 s[8:9], exec, s[8:9]
	s_cbranch_execz .LBB9_904
; %bb.899:
	s_mov_b32 s10, 0x387fffff
	v_cmp_lt_u32_e32 vcc, s10, v7
                                        ; implicit-def: $vgpr6
	s_and_saveexec_b64 s[10:11], vcc
	s_xor_b64 s[10:11], exec, s[10:11]
; %bb.900:
	v_bfe_u32 v6, v5, 21, 1
	s_mov_b32 s12, 0x80fffff
	v_add3_u32 v6, v5, v6, s12
	v_lshrrev_b32_e32 v6, 21, v6
; %bb.901:
	s_andn2_saveexec_b64 s[10:11], s[10:11]
; %bb.902:
	s_mov_b32 s12, 0x43000000
	v_add_f32_e64 v6, |v5|, s12
; %bb.903:
	s_or_b64 exec, exec, s[10:11]
                                        ; implicit-def: $vgpr7
.LBB9_904:
	s_andn2_saveexec_b64 s[8:9], s[8:9]
; %bb.905:
	s_mov_b32 s10, 0x7f800000
	v_mov_b32_e32 v6, 0x7c
	v_mov_b32_e32 v8, 0x7f
	v_cmp_lt_u32_e32 vcc, s10, v7
	v_cndmask_b32_e32 v6, v6, v8, vcc
; %bb.906:
	s_or_b64 exec, exec, s[8:9]
	v_lshrrev_b32_e32 v5, 24, v5
	s_movk_i32 s8, 0x80
	v_and_or_b32 v5, v5, s8, v6
	global_store_byte v[2:3], v5, off
.LBB9_907:
	s_mov_b64 s[8:9], 0
	s_mov_b64 s[10:11], -1
.LBB9_908:
	s_andn2_b64 vcc, exec, s[8:9]
	s_mov_b64 s[8:9], 0
	s_cbranch_vccnz .LBB9_915
; %bb.909:
	v_mov_b32_e32 v5, 14
	v_cmp_gt_i16_sdwa s[8:9], v46, v5 src0_sel:BYTE_0 src1_sel:DWORD
	s_mov_b64 s[12:13], -1
	s_and_b64 vcc, exec, s[8:9]
	s_cbranch_vccz .LBB9_913
; %bb.910:
	v_mov_b32_e32 v5, 15
	v_cmp_eq_u16_sdwa s[8:9], v46, v5 src0_sel:BYTE_0 src1_sel:DWORD
	s_mov_b64 s[4:5], -1
	s_and_b64 vcc, exec, s[8:9]
	s_cbranch_vccz .LBB9_912
; %bb.911:
	v_cvt_f32_f64_e32 v5, v[38:39]
	v_bfe_u32 v6, v5, 16, 1
	s_movk_i32 s4, 0x7fff
	v_add3_u32 v6, v5, v6, s4
	v_lshrrev_b32_e32 v6, 16, v6
	v_mov_b32_e32 v7, 0x7fc0
	v_cmp_o_f32_e32 vcc, v5, v5
	v_cndmask_b32_e32 v5, v7, v6, vcc
	global_store_short v[2:3], v5, off
	s_mov_b64 s[4:5], 0
	s_mov_b64 s[10:11], -1
.LBB9_912:
	s_mov_b64 s[12:13], 0
.LBB9_913:
	s_mov_b64 s[8:9], 0
	s_and_b64 vcc, exec, s[12:13]
	s_cbranch_vccz .LBB9_915
; %bb.914:
	v_mov_b32_e32 v5, 11
	v_cmp_ne_u16_sdwa s[4:5], v46, v5 src0_sel:BYTE_0 src1_sel:DWORD
	s_mov_b64 s[8:9], -1
.LBB9_915:
	s_and_b64 vcc, exec, s[4:5]
	s_cbranch_vccnz .LBB9_1004
; %bb.916:
	s_andn2_b64 vcc, exec, s[8:9]
	s_cbranch_vccnz .LBB9_918
.LBB9_917:
	v_cmp_neq_f64_e32 vcc, 0, v[38:39]
	v_cndmask_b32_e64 v5, 0, 1, vcc
	s_mov_b64 s[10:11], -1
	global_store_byte v[2:3], v5, off
.LBB9_918:
	s_branch .LBB9_762
.LBB9_919:
	v_mov_b32_e32 v5, 5
	v_cmp_lt_i16_sdwa s[8:9], v46, v5 src0_sel:BYTE_0 src1_sel:DWORD
	s_mov_b64 s[4:5], -1
	s_and_b64 vcc, exec, s[8:9]
	s_cbranch_vccnz .LBB9_940
; %bb.920:
	v_mov_b32_e32 v5, 8
	v_cmp_lt_i16_sdwa s[8:9], v46, v5 src0_sel:BYTE_0 src1_sel:DWORD
	s_and_b64 vcc, exec, s[8:9]
	s_cbranch_vccnz .LBB9_930
; %bb.921:
	v_mov_b32_e32 v5, 9
	v_cmp_lt_i16_sdwa s[8:9], v46, v5 src0_sel:BYTE_0 src1_sel:DWORD
	s_and_b64 vcc, exec, s[8:9]
	s_cbranch_vccnz .LBB9_927
; %bb.922:
	v_cmp_gt_i16_sdwa s[8:9], v46, v5 src0_sel:BYTE_0 src1_sel:DWORD
	s_and_b64 vcc, exec, s[8:9]
	s_cbranch_vccz .LBB9_924
; %bb.923:
	v_mov_b32_e32 v40, 0
	v_mov_b32_e32 v41, v40
	global_store_dwordx4 v[2:3], v[38:41], off
	s_mov_b64 s[4:5], 0
.LBB9_924:
	s_andn2_b64 vcc, exec, s[4:5]
	s_cbranch_vccnz .LBB9_926
; %bb.925:
	v_cvt_f32_f64_e32 v6, v[38:39]
	v_mov_b32_e32 v7, 0
	global_store_dwordx2 v[2:3], v[6:7], off
.LBB9_926:
	s_mov_b64 s[4:5], 0
.LBB9_927:
	s_andn2_b64 vcc, exec, s[4:5]
	s_cbranch_vccnz .LBB9_929
; %bb.928:
	v_cvt_f32_f64_e32 v5, v[38:39]
	v_cvt_f16_f32_e32 v5, v5
	global_store_dword v[2:3], v5, off
.LBB9_929:
	s_mov_b64 s[4:5], 0
.LBB9_930:
	s_andn2_b64 vcc, exec, s[4:5]
	s_cbranch_vccnz .LBB9_939
; %bb.931:
	v_mov_b32_e32 v5, 6
	v_cmp_lt_i16_sdwa s[8:9], v46, v5 src0_sel:BYTE_0 src1_sel:DWORD
	s_mov_b64 s[4:5], -1
	s_and_b64 vcc, exec, s[8:9]
	s_cbranch_vccnz .LBB9_937
; %bb.932:
	v_cmp_gt_i16_sdwa s[8:9], v46, v5 src0_sel:BYTE_0 src1_sel:DWORD
	s_and_b64 vcc, exec, s[8:9]
	s_cbranch_vccz .LBB9_934
; %bb.933:
	global_store_dwordx2 v[2:3], v[38:39], off
	s_mov_b64 s[4:5], 0
.LBB9_934:
	s_andn2_b64 vcc, exec, s[4:5]
	s_cbranch_vccnz .LBB9_936
; %bb.935:
	v_cvt_f32_f64_e32 v5, v[38:39]
	global_store_dword v[2:3], v5, off
.LBB9_936:
	s_mov_b64 s[4:5], 0
.LBB9_937:
	s_andn2_b64 vcc, exec, s[4:5]
	s_cbranch_vccnz .LBB9_939
; %bb.938:
	v_cvt_f32_f64_e32 v5, v[38:39]
	v_cvt_f16_f32_e32 v5, v5
	global_store_short v[2:3], v5, off
.LBB9_939:
	s_mov_b64 s[4:5], 0
.LBB9_940:
	s_andn2_b64 vcc, exec, s[4:5]
	s_cbranch_vccnz .LBB9_956
; %bb.941:
	v_mov_b32_e32 v5, 2
	v_cmp_lt_i16_sdwa s[8:9], v46, v5 src0_sel:BYTE_0 src1_sel:DWORD
	s_mov_b64 s[4:5], -1
	s_and_b64 vcc, exec, s[8:9]
	s_cbranch_vccnz .LBB9_951
; %bb.942:
	v_mov_b32_e32 v5, 3
	v_cmp_lt_i16_sdwa s[8:9], v46, v5 src0_sel:BYTE_0 src1_sel:DWORD
	s_and_b64 vcc, exec, s[8:9]
	s_cbranch_vccnz .LBB9_948
; %bb.943:
	v_cmp_gt_i16_sdwa s[8:9], v46, v5 src0_sel:BYTE_0 src1_sel:DWORD
	s_and_b64 vcc, exec, s[8:9]
	s_cbranch_vccz .LBB9_945
; %bb.944:
	v_trunc_f64_e32 v[6:7], v[38:39]
	s_movk_i32 s4, 0xffe0
	v_ldexp_f64 v[8:9], v[6:7], s4
	v_floor_f64_e32 v[8:9], v[8:9]
	v_fmac_f64_e32 v[6:7], 0xc1f00000, v[8:9]
	v_cvt_i32_f64_e32 v11, v[8:9]
	v_cvt_u32_f64_e32 v10, v[6:7]
	global_store_dwordx2 v[2:3], v[10:11], off
	s_mov_b64 s[4:5], 0
.LBB9_945:
	s_andn2_b64 vcc, exec, s[4:5]
	s_cbranch_vccnz .LBB9_947
; %bb.946:
	v_cvt_i32_f64_e32 v5, v[38:39]
	global_store_dword v[2:3], v5, off
.LBB9_947:
	s_mov_b64 s[4:5], 0
.LBB9_948:
	s_andn2_b64 vcc, exec, s[4:5]
	s_cbranch_vccnz .LBB9_950
; %bb.949:
	v_cvt_i32_f64_e32 v5, v[38:39]
	global_store_short v[2:3], v5, off
.LBB9_950:
	s_mov_b64 s[4:5], 0
.LBB9_951:
	s_andn2_b64 vcc, exec, s[4:5]
	s_cbranch_vccnz .LBB9_956
; %bb.952:
	v_mov_b32_e32 v5, 0
	v_cmp_gt_i16_sdwa s[8:9], v46, v5 src0_sel:BYTE_0 src1_sel:DWORD
	s_mov_b64 s[4:5], -1
	s_and_b64 vcc, exec, s[8:9]
	s_cbranch_vccz .LBB9_954
; %bb.953:
	v_cvt_i32_f64_e32 v5, v[38:39]
	global_store_byte v[2:3], v5, off
	s_mov_b64 s[4:5], 0
.LBB9_954:
	s_andn2_b64 vcc, exec, s[4:5]
	s_cbranch_vccnz .LBB9_956
; %bb.955:
	v_trunc_f64_e32 v[6:7], v[38:39]
	s_movk_i32 s4, 0xffe0
	v_ldexp_f64 v[8:9], v[6:7], s4
	v_floor_f64_e32 v[8:9], v[8:9]
	v_fmac_f64_e32 v[6:7], 0xc1f00000, v[8:9]
	v_cvt_u32_f64_e32 v5, v[6:7]
	global_store_byte v[2:3], v5, off
.LBB9_956:
	s_branch .LBB9_763
.LBB9_957:
	s_mov_b64 s[4:5], 0
	s_mov_b64 s[8:9], 0
                                        ; implicit-def: $vgpr6
                                        ; implicit-def: $vgpr4_vgpr5
.LBB9_958:
	s_and_b64 s[42:43], s[8:9], exec
	s_andn2_b64 s[8:9], s[46:47], exec
	s_and_b64 s[6:7], s[6:7], exec
	s_and_b64 s[4:5], s[4:5], exec
	s_or_b64 s[46:47], s[8:9], s[6:7]
.LBB9_959:
	s_or_b64 exec, exec, s[44:45]
	s_and_saveexec_b64 s[6:7], s[46:47]
	s_cbranch_execz .LBB9_962
; %bb.960:
	; divergent unreachable
	s_or_b64 exec, exec, s[6:7]
	s_and_saveexec_b64 s[6:7], s[42:43]
	s_xor_b64 s[6:7], exec, s[6:7]
	s_cbranch_execnz .LBB9_963
.LBB9_961:
	s_or_b64 exec, exec, s[6:7]
	s_and_saveexec_b64 s[6:7], s[4:5]
	s_cbranch_execnz .LBB9_964
	s_branch .LBB9_1001
.LBB9_962:
	s_or_b64 exec, exec, s[6:7]
	s_and_saveexec_b64 s[6:7], s[42:43]
	s_xor_b64 s[6:7], exec, s[6:7]
	s_cbranch_execz .LBB9_961
.LBB9_963:
	v_cmp_neq_f64_e32 vcc, 0, v[0:1]
	v_cndmask_b32_e64 v2, 0, 1, vcc
	global_store_byte v[4:5], v2, off
	s_or_b64 exec, exec, s[6:7]
	s_and_saveexec_b64 s[6:7], s[4:5]
	s_cbranch_execz .LBB9_1001
.LBB9_964:
	v_cmp_gt_i16_e32 vcc, 5, v6
	s_mov_b64 s[4:5], -1
	s_cbranch_vccnz .LBB9_985
; %bb.965:
	v_cmp_gt_i16_e32 vcc, 8, v6
	s_cbranch_vccnz .LBB9_975
; %bb.966:
	v_cmp_gt_i16_e32 vcc, 9, v6
	s_cbranch_vccnz .LBB9_972
; %bb.967:
	v_cmp_lt_i16_e32 vcc, 9, v6
	s_cbranch_vccz .LBB9_969
; %bb.968:
	v_mov_b32_e32 v2, 0
	v_mov_b32_e32 v3, v2
	global_store_dwordx4 v[4:5], v[0:3], off
	s_mov_b64 s[4:5], 0
.LBB9_969:
	s_andn2_b64 vcc, exec, s[4:5]
	s_cbranch_vccnz .LBB9_971
; %bb.970:
	v_cvt_f32_f64_e32 v2, v[0:1]
	v_mov_b32_e32 v3, 0
	global_store_dwordx2 v[4:5], v[2:3], off
.LBB9_971:
	s_mov_b64 s[4:5], 0
.LBB9_972:
	s_andn2_b64 vcc, exec, s[4:5]
	s_cbranch_vccnz .LBB9_974
; %bb.973:
	v_cvt_f32_f64_e32 v2, v[0:1]
	v_cvt_f16_f32_e32 v2, v2
	global_store_dword v[4:5], v2, off
.LBB9_974:
	s_mov_b64 s[4:5], 0
.LBB9_975:
	s_andn2_b64 vcc, exec, s[4:5]
	s_cbranch_vccnz .LBB9_984
; %bb.976:
	v_cmp_gt_i16_e32 vcc, 6, v6
	s_mov_b64 s[4:5], -1
	s_cbranch_vccnz .LBB9_982
; %bb.977:
	v_cmp_lt_i16_e32 vcc, 6, v6
	s_cbranch_vccz .LBB9_979
; %bb.978:
	global_store_dwordx2 v[4:5], v[0:1], off
	s_mov_b64 s[4:5], 0
.LBB9_979:
	s_andn2_b64 vcc, exec, s[4:5]
	s_cbranch_vccnz .LBB9_981
; %bb.980:
	v_cvt_f32_f64_e32 v2, v[0:1]
	global_store_dword v[4:5], v2, off
.LBB9_981:
	s_mov_b64 s[4:5], 0
.LBB9_982:
	s_andn2_b64 vcc, exec, s[4:5]
	s_cbranch_vccnz .LBB9_984
; %bb.983:
	v_cvt_f32_f64_e32 v2, v[0:1]
	v_cvt_f16_f32_e32 v2, v2
	global_store_short v[4:5], v2, off
.LBB9_984:
	s_mov_b64 s[4:5], 0
.LBB9_985:
	s_andn2_b64 vcc, exec, s[4:5]
	s_cbranch_vccnz .LBB9_1001
; %bb.986:
	v_cmp_gt_i16_e32 vcc, 2, v6
	s_mov_b64 s[4:5], -1
	s_cbranch_vccnz .LBB9_996
; %bb.987:
	v_cmp_gt_i16_e32 vcc, 3, v6
	s_cbranch_vccnz .LBB9_993
; %bb.988:
	v_cmp_lt_i16_e32 vcc, 3, v6
	s_cbranch_vccz .LBB9_990
; %bb.989:
	v_trunc_f64_e32 v[2:3], v[0:1]
	s_movk_i32 s4, 0xffe0
	v_ldexp_f64 v[8:9], v[2:3], s4
	v_floor_f64_e32 v[8:9], v[8:9]
	v_fmac_f64_e32 v[2:3], 0xc1f00000, v[8:9]
	v_cvt_i32_f64_e32 v11, v[8:9]
	v_cvt_u32_f64_e32 v10, v[2:3]
	global_store_dwordx2 v[4:5], v[10:11], off
	s_mov_b64 s[4:5], 0
.LBB9_990:
	s_andn2_b64 vcc, exec, s[4:5]
	s_cbranch_vccnz .LBB9_992
; %bb.991:
	v_cvt_i32_f64_e32 v2, v[0:1]
	global_store_dword v[4:5], v2, off
.LBB9_992:
	s_mov_b64 s[4:5], 0
.LBB9_993:
	s_andn2_b64 vcc, exec, s[4:5]
	s_cbranch_vccnz .LBB9_995
; %bb.994:
	v_cvt_i32_f64_e32 v2, v[0:1]
	global_store_short v[4:5], v2, off
.LBB9_995:
	s_mov_b64 s[4:5], 0
.LBB9_996:
	s_andn2_b64 vcc, exec, s[4:5]
	s_cbranch_vccnz .LBB9_1001
; %bb.997:
	v_cmp_lt_i16_e32 vcc, 0, v6
	s_mov_b64 s[4:5], -1
	s_cbranch_vccz .LBB9_999
; %bb.998:
	v_cvt_i32_f64_e32 v2, v[0:1]
	global_store_byte v[4:5], v2, off
	s_mov_b64 s[4:5], 0
.LBB9_999:
	s_andn2_b64 vcc, exec, s[4:5]
	s_cbranch_vccnz .LBB9_1001
; %bb.1000:
	v_trunc_f64_e32 v[0:1], v[0:1]
	s_movk_i32 s4, 0xffe0
	v_ldexp_f64 v[2:3], v[0:1], s4
	v_floor_f64_e32 v[2:3], v[2:3]
	v_fmac_f64_e32 v[0:1], 0xc1f00000, v[2:3]
	v_cvt_u32_f64_e32 v0, v[0:1]
	global_store_byte v[4:5], v0, off
	s_endpgm
.LBB9_1001:
	s_endpgm
.LBB9_1002:
	s_or_saveexec_b64 s[14:15], s[14:15]
                                        ; implicit-def: $sgpr17
	s_xor_b64 exec, exec, s[14:15]
	s_cbranch_execz .LBB9_869
.LBB9_1003:
	s_mov_b32 s17, 0x46000000
	v_add_f32_e64 v6, |v5|, s17
	v_and_b32_e32 v6, 0xff, v6
	v_cmp_ne_u32_e32 vcc, 0, v6
	s_andn2_b64 s[12:13], s[12:13], exec
	s_and_b64 s[18:19], vcc, exec
	s_mov_b32 s17, 0
	s_or_b64 s[12:13], s[12:13], s[18:19]
	s_or_b64 exec, exec, s[14:15]
	v_mov_b32_e32 v7, s17
	s_and_saveexec_b64 s[14:15], s[12:13]
	s_cbranch_execnz .LBB9_870
	s_branch .LBB9_871
.LBB9_1004:
	s_trap 2
	s_or_b64 s[6:7], s[6:7], exec
	s_cbranch_execz .LBB9_917
	s_branch .LBB9_918
.LBB9_1005:
	s_or_saveexec_b64 s[10:11], s[10:11]
                                        ; implicit-def: $sgpr12
	s_xor_b64 exec, exec, s[10:11]
	s_cbranch_execz .LBB9_295
.LBB9_1006:
	s_mov_b32 s12, 0x46000000
	v_add_f32_e64 v3, |v2|, s12
	v_and_b32_e32 v3, 0xff, v3
	v_cmp_ne_u32_e32 vcc, 0, v3
	s_andn2_b64 s[8:9], s[8:9], exec
	s_and_b64 s[14:15], vcc, exec
	s_mov_b32 s12, 0
	s_or_b64 s[8:9], s[8:9], s[14:15]
	s_or_b64 exec, exec, s[10:11]
	v_mov_b32_e32 v6, s12
	s_and_saveexec_b64 s[10:11], s[8:9]
	s_cbranch_execnz .LBB9_296
	s_branch .LBB9_297
.LBB9_1007:
	s_or_saveexec_b64 s[14:15], s[14:15]
                                        ; implicit-def: $sgpr16
	s_xor_b64 exec, exec, s[14:15]
	s_cbranch_execz .LBB9_792
.LBB9_1008:
	s_mov_b32 s16, 0x46000000
	v_add_f32_e64 v3, |v2|, s16
	v_and_b32_e32 v3, 0xff, v3
	v_cmp_ne_u32_e32 vcc, 0, v3
	s_andn2_b64 s[12:13], s[12:13], exec
	s_and_b64 s[18:19], vcc, exec
	s_mov_b32 s16, 0
	s_or_b64 s[12:13], s[12:13], s[18:19]
	s_or_b64 exec, exec, s[14:15]
	v_mov_b32_e32 v7, s16
	s_and_saveexec_b64 s[14:15], s[12:13]
	s_cbranch_execnz .LBB9_793
	s_branch .LBB9_794
.LBB9_1009:
	s_or_saveexec_b64 s[12:13], s[12:13]
                                        ; implicit-def: $sgpr14
	s_xor_b64 exec, exec, s[12:13]
	s_cbranch_execz .LBB9_882
.LBB9_1010:
	s_mov_b32 s14, 0x42800000
	v_add_f32_e64 v6, |v5|, s14
	v_and_b32_e32 v6, 0xff, v6
	v_cmp_ne_u32_e32 vcc, 0, v6
	s_andn2_b64 s[10:11], s[10:11], exec
	s_and_b64 s[18:19], vcc, exec
	s_mov_b32 s14, 0
	s_or_b64 s[10:11], s[10:11], s[18:19]
	s_or_b64 exec, exec, s[12:13]
	v_mov_b32_e32 v7, s14
	s_and_saveexec_b64 s[12:13], s[10:11]
	s_cbranch_execnz .LBB9_883
	s_branch .LBB9_884
.LBB9_1011:
	s_mov_b64 s[8:9], 0
	s_or_b64 s[6:7], s[6:7], exec
	s_trap 2
	s_branch .LBB9_838
.LBB9_1012:
	s_or_saveexec_b64 s[10:11], s[10:11]
                                        ; implicit-def: $sgpr12
	s_xor_b64 exec, exec, s[10:11]
	s_cbranch_execz .LBB9_308
.LBB9_1013:
	s_mov_b32 s12, 0x42800000
	v_add_f32_e64 v3, |v2|, s12
	v_and_b32_e32 v3, 0xff, v3
	v_cmp_ne_u32_e32 vcc, 0, v3
	s_andn2_b64 s[8:9], s[8:9], exec
	s_and_b64 s[14:15], vcc, exec
	s_mov_b32 s12, 0
	s_or_b64 s[8:9], s[8:9], s[14:15]
	s_or_b64 exec, exec, s[10:11]
	v_mov_b32_e32 v6, s12
	s_and_saveexec_b64 s[10:11], s[8:9]
	s_cbranch_execnz .LBB9_309
	s_branch .LBB9_310
.LBB9_1014:
	s_or_saveexec_b64 s[10:11], s[10:11]
                                        ; implicit-def: $sgpr12
	s_xor_b64 exec, exec, s[10:11]
	s_cbranch_execz .LBB9_417
.LBB9_1015:
	s_mov_b32 s12, 0x46000000
	v_add_f32_e64 v3, |v2|, s12
	v_and_b32_e32 v3, 0xff, v3
	v_cmp_ne_u32_e32 vcc, 0, v3
	s_andn2_b64 s[8:9], s[8:9], exec
	s_and_b64 s[14:15], vcc, exec
	s_mov_b32 s12, 0
	s_or_b64 s[8:9], s[8:9], s[14:15]
	s_or_b64 exec, exec, s[10:11]
	v_mov_b32_e32 v7, s12
	s_and_saveexec_b64 s[10:11], s[8:9]
	s_cbranch_execnz .LBB9_418
	s_branch .LBB9_419
.LBB9_1016:
	s_or_saveexec_b64 s[12:13], s[12:13]
                                        ; implicit-def: $sgpr14
	s_xor_b64 exec, exec, s[12:13]
	s_cbranch_execz .LBB9_804
.LBB9_1017:
	s_mov_b32 s14, 0x42800000
	v_add_f32_e64 v3, |v2|, s14
	v_and_b32_e32 v3, 0xff, v3
	v_cmp_ne_u32_e32 vcc, 0, v3
	s_andn2_b64 s[10:11], s[10:11], exec
	s_and_b64 s[16:17], vcc, exec
	s_mov_b32 s14, 0
	s_or_b64 s[10:11], s[10:11], s[16:17]
	s_or_b64 exec, exec, s[12:13]
	v_mov_b32_e32 v7, s14
	s_and_saveexec_b64 s[12:13], s[10:11]
	s_cbranch_execnz .LBB9_805
	s_branch .LBB9_806
.LBB9_1018:
	s_or_saveexec_b64 s[12:13], s[12:13]
                                        ; implicit-def: $sgpr14
	s_xor_b64 exec, exec, s[12:13]
	s_cbranch_execz .LBB9_429
.LBB9_1019:
	s_mov_b32 s14, 0x42800000
	v_add_f32_e64 v3, |v2|, s14
	v_and_b32_e32 v3, 0xff, v3
	v_cmp_ne_u32_e32 vcc, 0, v3
	s_andn2_b64 s[10:11], s[10:11], exec
	s_and_b64 s[16:17], vcc, exec
	s_mov_b32 s14, 0
	s_or_b64 s[10:11], s[10:11], s[16:17]
	s_or_b64 exec, exec, s[12:13]
	v_mov_b32_e32 v7, s14
	s_and_saveexec_b64 s[12:13], s[10:11]
	s_cbranch_execnz .LBB9_430
	s_branch .LBB9_431
	.section	.rodata,"a",@progbits
	.p2align	6, 0x0
	.amdhsa_kernel _ZN2at6native32elementwise_kernel_manual_unrollILi128ELi4EZNS0_15gpu_kernel_implIZZZNS0_12_GLOBAL__N_121bessel_j0_kernel_cudaERNS_18TensorIteratorBaseEENKUlvE_clEvENKUlvE_clEvEUldE_EEvS5_RKT_EUlibE_EEviT1_
		.amdhsa_group_segment_fixed_size 0
		.amdhsa_private_segment_fixed_size 8
		.amdhsa_kernarg_size 40
		.amdhsa_user_sgpr_count 8
		.amdhsa_user_sgpr_private_segment_buffer 1
		.amdhsa_user_sgpr_dispatch_ptr 0
		.amdhsa_user_sgpr_queue_ptr 0
		.amdhsa_user_sgpr_kernarg_segment_ptr 1
		.amdhsa_user_sgpr_dispatch_id 0
		.amdhsa_user_sgpr_flat_scratch_init 1
		.amdhsa_user_sgpr_kernarg_preload_length 0
		.amdhsa_user_sgpr_kernarg_preload_offset 0
		.amdhsa_user_sgpr_private_segment_size 0
		.amdhsa_uses_dynamic_stack 0
		.amdhsa_system_sgpr_private_segment_wavefront_offset 1
		.amdhsa_system_sgpr_workgroup_id_x 1
		.amdhsa_system_sgpr_workgroup_id_y 0
		.amdhsa_system_sgpr_workgroup_id_z 0
		.amdhsa_system_sgpr_workgroup_info 0
		.amdhsa_system_vgpr_workitem_id 0
		.amdhsa_next_free_vgpr 47
		.amdhsa_next_free_sgpr 60
		.amdhsa_accum_offset 48
		.amdhsa_reserve_vcc 1
		.amdhsa_reserve_flat_scratch 1
		.amdhsa_float_round_mode_32 0
		.amdhsa_float_round_mode_16_64 0
		.amdhsa_float_denorm_mode_32 3
		.amdhsa_float_denorm_mode_16_64 3
		.amdhsa_dx10_clamp 1
		.amdhsa_ieee_mode 1
		.amdhsa_fp16_overflow 0
		.amdhsa_tg_split 0
		.amdhsa_exception_fp_ieee_invalid_op 0
		.amdhsa_exception_fp_denorm_src 0
		.amdhsa_exception_fp_ieee_div_zero 0
		.amdhsa_exception_fp_ieee_overflow 0
		.amdhsa_exception_fp_ieee_underflow 0
		.amdhsa_exception_fp_ieee_inexact 0
		.amdhsa_exception_int_div_zero 0
	.end_amdhsa_kernel
	.section	.text._ZN2at6native32elementwise_kernel_manual_unrollILi128ELi4EZNS0_15gpu_kernel_implIZZZNS0_12_GLOBAL__N_121bessel_j0_kernel_cudaERNS_18TensorIteratorBaseEENKUlvE_clEvENKUlvE_clEvEUldE_EEvS5_RKT_EUlibE_EEviT1_,"axG",@progbits,_ZN2at6native32elementwise_kernel_manual_unrollILi128ELi4EZNS0_15gpu_kernel_implIZZZNS0_12_GLOBAL__N_121bessel_j0_kernel_cudaERNS_18TensorIteratorBaseEENKUlvE_clEvENKUlvE_clEvEUldE_EEvS5_RKT_EUlibE_EEviT1_,comdat
.Lfunc_end9:
	.size	_ZN2at6native32elementwise_kernel_manual_unrollILi128ELi4EZNS0_15gpu_kernel_implIZZZNS0_12_GLOBAL__N_121bessel_j0_kernel_cudaERNS_18TensorIteratorBaseEENKUlvE_clEvENKUlvE_clEvEUldE_EEvS5_RKT_EUlibE_EEviT1_, .Lfunc_end9-_ZN2at6native32elementwise_kernel_manual_unrollILi128ELi4EZNS0_15gpu_kernel_implIZZZNS0_12_GLOBAL__N_121bessel_j0_kernel_cudaERNS_18TensorIteratorBaseEENKUlvE_clEvENKUlvE_clEvEUldE_EEvS5_RKT_EUlibE_EEviT1_
                                        ; -- End function
	.section	.AMDGPU.csdata,"",@progbits
; Kernel info:
; codeLenInByte = 18632
; NumSgprs: 66
; NumVgprs: 47
; NumAgprs: 0
; TotalNumVgprs: 47
; ScratchSize: 8
; MemoryBound: 0
; FloatMode: 240
; IeeeMode: 1
; LDSByteSize: 0 bytes/workgroup (compile time only)
; SGPRBlocks: 8
; VGPRBlocks: 5
; NumSGPRsForWavesPerEU: 66
; NumVGPRsForWavesPerEU: 47
; AccumOffset: 48
; Occupancy: 8
; WaveLimiterHint : 0
; COMPUTE_PGM_RSRC2:SCRATCH_EN: 1
; COMPUTE_PGM_RSRC2:USER_SGPR: 8
; COMPUTE_PGM_RSRC2:TRAP_HANDLER: 0
; COMPUTE_PGM_RSRC2:TGID_X_EN: 1
; COMPUTE_PGM_RSRC2:TGID_Y_EN: 0
; COMPUTE_PGM_RSRC2:TGID_Z_EN: 0
; COMPUTE_PGM_RSRC2:TIDIG_COMP_CNT: 0
; COMPUTE_PGM_RSRC3_GFX90A:ACCUM_OFFSET: 11
; COMPUTE_PGM_RSRC3_GFX90A:TG_SPLIT: 0
	.text
	.p2align	2                               ; -- Begin function _ZN2at6native6invokeIZZZNS0_12_GLOBAL__N_121bessel_j0_kernel_cudaERNS_18TensorIteratorBaseEENKUlvE_clEvENKUlvE_clEvEUldE_j15function_traitsIS7_EEENT1_11result_typeERKT_PrKPcPKT0_PKN3c1010ScalarTypeEi
	.type	_ZN2at6native6invokeIZZZNS0_12_GLOBAL__N_121bessel_j0_kernel_cudaERNS_18TensorIteratorBaseEENKUlvE_clEvENKUlvE_clEvEUldE_j15function_traitsIS7_EEENT1_11result_typeERKT_PrKPcPKT0_PKN3c1010ScalarTypeEi,@function
_ZN2at6native6invokeIZZZNS0_12_GLOBAL__N_121bessel_j0_kernel_cudaERNS_18TensorIteratorBaseEENKUlvE_clEvENKUlvE_clEvEUldE_j15function_traitsIS7_EEENT1_11result_typeERKT_PrKPcPKT0_PKN3c1010ScalarTypeEi: ; @_ZN2at6native6invokeIZZZNS0_12_GLOBAL__N_121bessel_j0_kernel_cudaERNS_18TensorIteratorBaseEENKUlvE_clEvENKUlvE_clEvEUldE_j15function_traitsIS7_EEENT1_11result_typeERKT_PrKPcPKT0_PKN3c1010ScalarTypeEi
; %bb.0:
	s_waitcnt vmcnt(0) expcnt(0) lgkmcnt(0)
	s_xor_saveexec_b64 s[4:5], -1
	buffer_store_dword v36, off, s[0:3], s32 ; 4-byte Folded Spill
	s_mov_b64 exec, s[4:5]
	v_writelane_b32 v36, s34, 0
	v_writelane_b32 v36, s35, 1
	;; [unrolled: 1-line block ×4, first 2 shown]
	v_add_co_u32_e32 v0, vcc, v0, v2
	v_mov_b32_e32 v2, 10
	v_addc_co_u32_e32 v1, vcc, 0, v1, vcc
	v_cmp_gt_i16_sdwa s[4:5], v3, v2 src0_sel:BYTE_0 src1_sel:DWORD
	s_mov_b64 s[8:9], 0
                                        ; implicit-def: $vgpr4_vgpr5
	s_and_saveexec_b64 s[6:7], s[4:5]
	s_xor_b64 s[4:5], exec, s[6:7]
	s_cbranch_execz .LBB10_40
; %bb.1:
	v_mov_b32_e32 v2, 25
	v_cmp_gt_i16_sdwa s[10:11], v3, v2 src0_sel:BYTE_0 src1_sel:DWORD
	s_mov_b64 s[6:7], 0
	s_mov_b64 s[12:13], 0
                                        ; implicit-def: $vgpr4_vgpr5
	s_and_saveexec_b64 s[14:15], s[10:11]
	s_xor_b64 s[10:11], exec, s[14:15]
	s_cbranch_execz .LBB10_91
; %bb.2:
	v_mov_b32_e32 v2, 28
	v_cmp_gt_i16_sdwa s[8:9], v3, v2 src0_sel:BYTE_0 src1_sel:DWORD
	s_mov_b64 s[14:15], 0
                                        ; implicit-def: $vgpr4_vgpr5
	s_and_saveexec_b64 s[16:17], s[8:9]
	s_xor_b64 s[8:9], exec, s[16:17]
	s_cbranch_execz .LBB10_18
; %bb.3:
	v_mov_b32_e32 v2, 43
	v_cmp_gt_i16_sdwa s[12:13], v3, v2 src0_sel:BYTE_0 src1_sel:DWORD
	s_mov_b64 s[16:17], 0
	s_mov_b64 s[18:19], 0
                                        ; implicit-def: $vgpr4_vgpr5
	s_and_saveexec_b64 s[14:15], s[12:13]
	s_xor_b64 s[12:13], exec, s[14:15]
	s_cbranch_execz .LBB10_13
; %bb.4:
	v_mov_b32_e32 v2, 45
	v_cmp_gt_i16_sdwa s[18:19], v3, v2 src0_sel:BYTE_0 src1_sel:DWORD
	s_mov_b64 s[14:15], 0
                                        ; implicit-def: $vgpr4_vgpr5
	s_and_saveexec_b64 s[20:21], s[18:19]
	s_xor_b64 s[18:19], exec, s[20:21]
	s_cbranch_execz .LBB10_8
; %bb.5:
	v_mov_b32_e32 v2, 46
	v_cmp_eq_u16_sdwa s[22:23], v3, v2 src0_sel:BYTE_0 src1_sel:DWORD
	s_mov_b64 s[20:21], -1
                                        ; implicit-def: $vgpr4_vgpr5
	s_and_saveexec_b64 s[16:17], s[22:23]
	s_cbranch_execz .LBB10_7
; %bb.6:
	flat_load_dword v2, v[0:1]
	s_mov_b64 s[14:15], exec
	s_xor_b64 s[20:21], exec, -1
	s_waitcnt vmcnt(0) lgkmcnt(0)
	v_lshlrev_b32_e32 v2, 16, v2
	v_cvt_f64_f32_e32 v[4:5], v2
.LBB10_7:
	s_or_b64 exec, exec, s[16:17]
	s_and_b64 s[16:17], s[14:15], exec
	s_and_b64 s[14:15], s[20:21], exec
                                        ; implicit-def: $vgpr3
.LBB10_8:
	s_andn2_saveexec_b64 s[18:19], s[18:19]
	s_cbranch_execz .LBB10_12
; %bb.9:
	v_mov_b32_e32 v2, 44
	v_cmp_eq_u16_sdwa s[26:27], v3, v2 src0_sel:BYTE_0 src1_sel:DWORD
	s_mov_b64 s[24:25], -1
	s_mov_b64 s[22:23], s[16:17]
                                        ; implicit-def: $vgpr4_vgpr5
	s_and_saveexec_b64 s[20:21], s[26:27]
	s_cbranch_execz .LBB10_11
; %bb.10:
	flat_load_ubyte v4, v[0:1]
	s_movk_i32 s24, 0xff
	v_bfrev_b32_e32 v5, 4
	v_mov_b32_e32 v6, 0x7ff80000
	v_bfrev_b32_e32 v7, 28
	s_or_b64 s[22:23], s[16:17], exec
	s_waitcnt vmcnt(0) lgkmcnt(0)
	v_lshlrev_b32_e32 v2, 23, v4
	v_cvt_f64_f32_e32 v[2:3], v2
	v_cmp_ne_u32_e32 vcc, s24, v4
	v_cndmask_b32_e32 v2, v5, v2, vcc
	v_cndmask_b32_e32 v3, v6, v3, vcc
	v_cmp_ne_u32_e32 vcc, 0, v4
	v_cndmask_b32_e32 v5, v7, v3, vcc
	v_cndmask_b32_e32 v4, 0, v2, vcc
	s_xor_b64 s[24:25], exec, -1
.LBB10_11:
	s_or_b64 exec, exec, s[20:21]
	s_andn2_b64 s[16:17], s[16:17], exec
	s_and_b64 s[20:21], s[22:23], exec
	s_or_b64 s[16:17], s[16:17], s[20:21]
	s_andn2_b64 s[14:15], s[14:15], exec
	s_and_b64 s[20:21], s[24:25], exec
	s_or_b64 s[14:15], s[14:15], s[20:21]
.LBB10_12:
	s_or_b64 exec, exec, s[18:19]
	s_and_b64 s[18:19], s[16:17], exec
	s_and_b64 s[16:17], s[14:15], exec
                                        ; implicit-def: $vgpr3
.LBB10_13:
	s_andn2_saveexec_b64 s[12:13], s[12:13]
	s_cbranch_execz .LBB10_17
; %bb.14:
	v_mov_b32_e32 v2, 29
	v_cmp_eq_u16_sdwa s[24:25], v3, v2 src0_sel:BYTE_0 src1_sel:DWORD
	s_mov_b64 s[14:15], -1
	s_mov_b64 s[20:21], s[18:19]
                                        ; implicit-def: $vgpr4_vgpr5
	s_and_saveexec_b64 s[22:23], s[24:25]
	s_cbranch_execz .LBB10_16
; %bb.15:
	flat_load_dwordx2 v[2:3], v[0:1]
	s_or_b64 s[20:21], s[18:19], exec
	s_xor_b64 s[14:15], exec, -1
	s_waitcnt vmcnt(0) lgkmcnt(0)
	v_cvt_f64_u32_e32 v[4:5], v3
	v_cvt_f64_u32_e32 v[2:3], v2
	v_ldexp_f64 v[4:5], v[4:5], 32
	v_add_f64 v[4:5], v[4:5], v[2:3]
.LBB10_16:
	s_or_b64 exec, exec, s[22:23]
	s_andn2_b64 s[18:19], s[18:19], exec
	s_and_b64 s[20:21], s[20:21], exec
	s_andn2_b64 s[16:17], s[16:17], exec
	s_and_b64 s[14:15], s[14:15], exec
	s_or_b64 s[18:19], s[18:19], s[20:21]
	s_or_b64 s[16:17], s[16:17], s[14:15]
.LBB10_17:
	s_or_b64 exec, exec, s[12:13]
	s_and_b64 s[14:15], s[18:19], exec
	s_and_b64 s[12:13], s[16:17], exec
                                        ; implicit-def: $vgpr3
.LBB10_18:
	s_andn2_saveexec_b64 s[8:9], s[8:9]
	s_cbranch_execz .LBB10_34
; %bb.19:
	v_mov_b32_e32 v2, 26
	v_cmp_gt_i16_sdwa s[16:17], v3, v2 src0_sel:BYTE_0 src1_sel:DWORD
                                        ; implicit-def: $vgpr4_vgpr5
	s_and_saveexec_b64 s[18:19], s[16:17]
	s_xor_b64 s[16:17], exec, s[18:19]
	s_cbranch_execz .LBB10_25
; %bb.20:
	v_mov_b32_e32 v2, 27
	v_cmp_gt_i16_sdwa s[18:19], v3, v2 src0_sel:BYTE_0 src1_sel:DWORD
                                        ; implicit-def: $vgpr4_vgpr5
	s_and_saveexec_b64 s[20:21], s[18:19]
	s_xor_b64 s[18:19], exec, s[20:21]
	s_cbranch_execz .LBB10_22
; %bb.21:
	flat_load_dword v2, v[0:1]
	s_waitcnt vmcnt(0) lgkmcnt(0)
	v_cvt_f64_u32_e32 v[4:5], v2
.LBB10_22:
	s_andn2_saveexec_b64 s[18:19], s[18:19]
	s_cbranch_execz .LBB10_24
; %bb.23:
	flat_load_ushort v2, v[0:1]
	s_waitcnt vmcnt(0) lgkmcnt(0)
	v_cvt_f64_u32_e32 v[4:5], v2
.LBB10_24:
	s_or_b64 exec, exec, s[18:19]
.LBB10_25:
	s_andn2_saveexec_b64 s[16:17], s[16:17]
	s_cbranch_execz .LBB10_33
; %bb.26:
	flat_load_ubyte v2, v[0:1]
	s_movk_i32 s18, 0x7f
                                        ; implicit-def: $sgpr20_sgpr21
	s_waitcnt vmcnt(0) lgkmcnt(0)
	v_cmp_lt_i16_e32 vcc, s18, v2
	s_mov_b64 s[18:19], 0
	s_and_saveexec_b64 s[22:23], vcc
	s_xor_b64 s[22:23], exec, s[22:23]
	s_cbranch_execz .LBB10_127
; %bb.27:
	s_movk_i32 s18, 0x80
	v_cmp_eq_u16_e32 vcc, s18, v2
	s_mov_b64 s[24:25], -1
                                        ; implicit-def: $sgpr20_sgpr21
	s_and_saveexec_b64 s[18:19], vcc
; %bb.28:
	s_mov_b32 s21, 0x7ff80000
	s_brev_b32 s20, 4
	s_xor_b64 s[24:25], exec, -1
; %bb.29:
	s_or_b64 exec, exec, s[18:19]
	s_and_b64 s[18:19], s[24:25], exec
	s_or_saveexec_b64 s[22:23], s[22:23]
	v_pk_mov_b32 v[4:5], s[20:21], s[20:21] op_sel:[0,1]
	s_xor_b64 exec, exec, s[22:23]
	s_cbranch_execnz .LBB10_128
.LBB10_30:
	s_or_b64 exec, exec, s[22:23]
	s_and_saveexec_b64 s[20:21], s[18:19]
	s_cbranch_execz .LBB10_32
.LBB10_31:
	v_lshlrev_b32_e32 v3, 24, v2
	v_and_b32_e32 v2, 0xffff, v2
	v_and_b32_e32 v4, 7, v2
	v_ffbh_u32_e32 v6, v4
	v_min_u32_e32 v6, 32, v6
	v_subrev_u32_e32 v7, 28, v6
	v_bfe_u32 v5, v2, 3, 4
	v_lshlrev_b32_e32 v2, v7, v2
	v_sub_u32_e32 v6, 29, v6
	v_and_b32_e32 v2, 7, v2
	v_cmp_eq_u32_e32 vcc, 0, v5
	v_cndmask_b32_e32 v5, v5, v6, vcc
	v_cndmask_b32_e32 v2, v4, v2, vcc
	v_mov_b32_e32 v4, 0x3b800000
	v_lshlrev_b32_e32 v2, 20, v2
	v_and_b32_e32 v3, 0x80000000, v3
	v_lshl_add_u32 v4, v5, 23, v4
	v_or3_b32 v2, v3, v4, v2
	v_cvt_f64_f32_e32 v[4:5], v2
.LBB10_32:
	s_or_b64 exec, exec, s[20:21]
.LBB10_33:
	s_or_b64 exec, exec, s[16:17]
	s_or_b64 s[14:15], s[14:15], exec
.LBB10_34:
	s_or_b64 exec, exec, s[8:9]
	s_and_b64 s[8:9], s[14:15], exec
	s_and_b64 s[12:13], s[12:13], exec
                                        ; implicit-def: $vgpr3
	s_andn2_saveexec_b64 s[10:11], s[10:11]
	s_cbranch_execnz .LBB10_92
.LBB10_35:
	s_or_b64 exec, exec, s[10:11]
	s_and_saveexec_b64 s[10:11], s[12:13]
	s_cbranch_execnz .LBB10_117
.LBB10_36:
	s_or_b64 exec, exec, s[10:11]
	s_and_saveexec_b64 s[10:11], s[6:7]
	s_xor_b64 s[6:7], exec, s[10:11]
	s_cbranch_execz .LBB10_38
.LBB10_37:
	flat_load_ubyte v0, v[0:1]
	v_mov_b32_e32 v1, 0x3ff00000
	v_mov_b32_e32 v4, 0
	s_or_b64 s[8:9], s[8:9], exec
	s_waitcnt vmcnt(0) lgkmcnt(0)
	v_cmp_ne_u16_e32 vcc, 0, v0
	v_cndmask_b32_e32 v5, 0, v1, vcc
.LBB10_38:
	s_or_b64 exec, exec, s[6:7]
	s_and_b64 s[8:9], s[8:9], exec
                                        ; implicit-def: $vgpr3
                                        ; implicit-def: $vgpr0_vgpr1
	s_andn2_saveexec_b64 s[4:5], s[4:5]
	s_cbranch_execnz .LBB10_41
.LBB10_39:
	s_or_b64 exec, exec, s[4:5]
                                        ; implicit-def: $vgpr0_vgpr1
	s_and_saveexec_b64 s[6:7], s[8:9]
	s_cbranch_execnz .LBB10_82
	s_branch .LBB10_126
.LBB10_40:
	s_andn2_saveexec_b64 s[4:5], s[4:5]
	s_cbranch_execz .LBB10_39
.LBB10_41:
	v_mov_b32_e32 v2, 4
	v_cmp_gt_i16_sdwa s[6:7], v3, v2 src0_sel:BYTE_0 src1_sel:DWORD
                                        ; implicit-def: $vgpr4_vgpr5
	s_and_saveexec_b64 s[10:11], s[6:7]
	s_xor_b64 s[6:7], exec, s[10:11]
	s_cbranch_execz .LBB10_63
; %bb.42:
	v_mov_b32_e32 v2, 7
	v_cmp_gt_i16_sdwa s[10:11], v3, v2 src0_sel:BYTE_0 src1_sel:DWORD
                                        ; implicit-def: $vgpr4_vgpr5
	s_and_saveexec_b64 s[12:13], s[10:11]
	s_xor_b64 s[10:11], exec, s[12:13]
	s_cbranch_execz .LBB10_52
; %bb.43:
	;; [unrolled: 7-line block ×4, first 2 shown]
	flat_load_dwordx2 v[4:5], v[0:1]
                                        ; implicit-def: $vgpr0_vgpr1
.LBB10_46:
	s_andn2_saveexec_b64 s[14:15], s[14:15]
	s_cbranch_execz .LBB10_48
; %bb.47:
	flat_load_dword v0, v[0:1]
	s_waitcnt vmcnt(0) lgkmcnt(0)
	v_cvt_f64_f32_e32 v[4:5], v0
.LBB10_48:
	s_or_b64 exec, exec, s[14:15]
                                        ; implicit-def: $vgpr0_vgpr1
.LBB10_49:
	s_andn2_saveexec_b64 s[12:13], s[12:13]
	s_cbranch_execz .LBB10_51
; %bb.50:
	flat_load_dword v0, v[0:1]
	s_waitcnt vmcnt(0) lgkmcnt(0)
	v_cvt_f32_f16_e32 v0, v0
	v_cvt_f64_f32_e32 v[4:5], v0
.LBB10_51:
	s_or_b64 exec, exec, s[12:13]
                                        ; implicit-def: $vgpr0_vgpr1
                                        ; implicit-def: $vgpr3
.LBB10_52:
	s_andn2_saveexec_b64 s[10:11], s[10:11]
	s_cbranch_execz .LBB10_62
; %bb.53:
	v_mov_b32_e32 v2, 5
	v_cmp_gt_i16_sdwa s[12:13], v3, v2 src0_sel:BYTE_0 src1_sel:DWORD
                                        ; implicit-def: $vgpr4_vgpr5
	s_and_saveexec_b64 s[14:15], s[12:13]
	s_xor_b64 s[12:13], exec, s[14:15]
	s_cbranch_execz .LBB10_59
; %bb.54:
	v_mov_b32_e32 v2, 6
	v_cmp_gt_i16_sdwa s[14:15], v3, v2 src0_sel:BYTE_0 src1_sel:DWORD
                                        ; implicit-def: $vgpr4_vgpr5
	s_and_saveexec_b64 s[16:17], s[14:15]
	s_xor_b64 s[14:15], exec, s[16:17]
	s_cbranch_execz .LBB10_56
; %bb.55:
	s_waitcnt vmcnt(0) lgkmcnt(0)
	flat_load_dwordx2 v[4:5], v[0:1]
                                        ; implicit-def: $vgpr0_vgpr1
.LBB10_56:
	s_andn2_saveexec_b64 s[14:15], s[14:15]
	s_cbranch_execz .LBB10_58
; %bb.57:
	flat_load_dword v0, v[0:1]
	s_waitcnt vmcnt(0) lgkmcnt(0)
	v_cvt_f64_f32_e32 v[4:5], v0
.LBB10_58:
	s_or_b64 exec, exec, s[14:15]
                                        ; implicit-def: $vgpr0_vgpr1
.LBB10_59:
	s_andn2_saveexec_b64 s[12:13], s[12:13]
	s_cbranch_execz .LBB10_61
; %bb.60:
	flat_load_ushort v0, v[0:1]
	s_waitcnt vmcnt(0) lgkmcnt(0)
	v_cvt_f32_f16_e32 v0, v0
	v_cvt_f64_f32_e32 v[4:5], v0
.LBB10_61:
	s_or_b64 exec, exec, s[12:13]
.LBB10_62:
	s_or_b64 exec, exec, s[10:11]
                                        ; implicit-def: $vgpr3
                                        ; implicit-def: $vgpr0_vgpr1
.LBB10_63:
	s_andn2_saveexec_b64 s[6:7], s[6:7]
	s_cbranch_execz .LBB10_81
; %bb.64:
	v_mov_b32_e32 v2, 1
	v_cmp_gt_i16_sdwa s[10:11], v3, v2 src0_sel:BYTE_0 src1_sel:DWORD
                                        ; implicit-def: $vgpr4_vgpr5
	s_and_saveexec_b64 s[12:13], s[10:11]
	s_xor_b64 s[10:11], exec, s[12:13]
	s_cbranch_execz .LBB10_74
; %bb.65:
	v_mov_b32_e32 v2, 2
	v_cmp_gt_i16_sdwa s[12:13], v3, v2 src0_sel:BYTE_0 src1_sel:DWORD
                                        ; implicit-def: $vgpr4_vgpr5
	s_and_saveexec_b64 s[14:15], s[12:13]
	s_xor_b64 s[12:13], exec, s[14:15]
	;; [unrolled: 7-line block ×3, first 2 shown]
	s_cbranch_execz .LBB10_68
; %bb.67:
	flat_load_dwordx2 v[0:1], v[0:1]
	s_waitcnt vmcnt(0) lgkmcnt(0)
	v_cvt_f64_i32_e32 v[2:3], v1
	v_ldexp_f64 v[2:3], v[2:3], 32
	v_cvt_f64_u32_e32 v[0:1], v0
	v_add_f64 v[4:5], v[2:3], v[0:1]
                                        ; implicit-def: $vgpr0_vgpr1
.LBB10_68:
	s_andn2_saveexec_b64 s[14:15], s[14:15]
	s_cbranch_execz .LBB10_70
; %bb.69:
	flat_load_dword v0, v[0:1]
	s_waitcnt vmcnt(0) lgkmcnt(0)
	v_cvt_f64_i32_e32 v[4:5], v0
.LBB10_70:
	s_or_b64 exec, exec, s[14:15]
                                        ; implicit-def: $vgpr0_vgpr1
.LBB10_71:
	s_andn2_saveexec_b64 s[12:13], s[12:13]
	s_cbranch_execz .LBB10_73
; %bb.72:
	flat_load_sshort v0, v[0:1]
	s_waitcnt vmcnt(0) lgkmcnt(0)
	v_cvt_f64_i32_e32 v[4:5], v0
.LBB10_73:
	s_or_b64 exec, exec, s[12:13]
                                        ; implicit-def: $vgpr0_vgpr1
                                        ; implicit-def: $vgpr3
.LBB10_74:
	s_andn2_saveexec_b64 s[10:11], s[10:11]
	s_cbranch_execz .LBB10_80
; %bb.75:
	v_mov_b32_e32 v2, 0
	v_cmp_gt_i16_sdwa s[12:13], v3, v2 src0_sel:BYTE_0 src1_sel:DWORD
                                        ; implicit-def: $vgpr4_vgpr5
	s_and_saveexec_b64 s[14:15], s[12:13]
	s_xor_b64 s[12:13], exec, s[14:15]
	s_cbranch_execz .LBB10_77
; %bb.76:
	flat_load_sbyte v0, v[0:1]
	s_waitcnt vmcnt(0) lgkmcnt(0)
	v_cvt_f64_i32_e32 v[4:5], v0
                                        ; implicit-def: $vgpr0_vgpr1
.LBB10_77:
	s_andn2_saveexec_b64 s[12:13], s[12:13]
	s_cbranch_execz .LBB10_79
; %bb.78:
	flat_load_ubyte v0, v[0:1]
	s_waitcnt vmcnt(0) lgkmcnt(0)
	v_cvt_f64_u32_e32 v[4:5], v0
.LBB10_79:
	s_or_b64 exec, exec, s[12:13]
.LBB10_80:
	s_or_b64 exec, exec, s[10:11]
.LBB10_81:
	s_or_b64 exec, exec, s[6:7]
	s_or_b64 s[8:9], s[8:9], exec
	s_or_b64 exec, exec, s[4:5]
                                        ; implicit-def: $vgpr0_vgpr1
	s_and_saveexec_b64 s[6:7], s[8:9]
	s_cbranch_execz .LBB10_126
.LBB10_82:
	s_waitcnt vmcnt(0) lgkmcnt(0)
	v_xor_b32_e32 v0, 0x80000000, v5
	v_cmp_gt_f64_e32 vcc, 0, v[4:5]
	s_mov_b32 s4, 0
	v_cndmask_b32_e32 v3, v5, v0, vcc
	v_cndmask_b32_e32 v2, v4, v4, vcc
	s_mov_b32 s5, 0x40140000
	v_cmp_ge_f64_e32 vcc, s[4:5], v[2:3]
	v_mul_f64 v[4:5], v[2:3], v[2:3]
                                        ; implicit-def: $vgpr0_vgpr1
	s_and_saveexec_b64 s[4:5], vcc
	s_xor_b64 s[4:5], exec, s[4:5]
	s_cbranch_execz .LBB10_88
; %bb.83:
	s_mov_b32 s8, 0x88e368f1
	s_mov_b32 s9, 0x3ee4f8b5
	v_cmp_ngt_f64_e32 vcc, s[8:9], v[2:3]
                                        ; implicit-def: $vgpr0_vgpr1
	s_and_saveexec_b64 s[8:9], vcc
	s_xor_b64 s[8:9], exec, s[8:9]
	s_cbranch_execz .LBB10_85
; %bb.84:
	v_mov_b32_e32 v0, 0xad1c8325
	v_mov_b32_e32 v1, 0xc1f1dc53
	v_fmac_f64_e32 v[0:1], 0, v[4:5]
	v_mov_b32_e32 v2, 0xc772990d
	v_mov_b32_e32 v3, 0x427c7751
	v_fmac_f64_e32 v[2:3], v[4:5], v[0:1]
	;; [unrolled: 3-line block ×10, first 2 shown]
	v_mov_b32_e32 v6, 0xc7b662cc
	v_mov_b32_e32 v7, 0x43b7be34
	s_mov_b32 s10, 0x80462bbb
	v_fmac_f64_e32 v[6:7], v[4:5], v[2:3]
	v_mov_b32_e32 v2, 0x69ff5fb4
	v_mov_b32_e32 v3, 0x43413ef8
	s_mov_b32 s11, 0xc01721fb
	v_fmac_f64_e32 v[2:3], v[4:5], v[0:1]
	v_add_f64 v[0:1], v[4:5], s[10:11]
	s_mov_b32 s10, 0xa621dd6f
	s_mov_b32 s11, 0xc03e78a4
	v_add_f64 v[4:5], v[4:5], s[10:11]
	v_mul_f64 v[0:1], v[0:1], v[4:5]
	v_mul_f64 v[0:1], v[0:1], v[2:3]
	v_div_scale_f64 v[2:3], s[10:11], v[6:7], v[6:7], v[0:1]
	v_rcp_f64_e32 v[4:5], v[2:3]
	v_fma_f64 v[8:9], -v[2:3], v[4:5], 1.0
	v_fmac_f64_e32 v[4:5], v[4:5], v[8:9]
	v_fma_f64 v[8:9], -v[2:3], v[4:5], 1.0
	v_fmac_f64_e32 v[4:5], v[4:5], v[8:9]
	v_div_scale_f64 v[8:9], vcc, v[0:1], v[6:7], v[0:1]
	v_mul_f64 v[10:11], v[8:9], v[4:5]
	v_fma_f64 v[2:3], -v[2:3], v[10:11], v[8:9]
	s_nop 1
	v_div_fmas_f64 v[2:3], v[2:3], v[4:5], v[10:11]
	v_div_fixup_f64 v[0:1], v[2:3], v[6:7], v[0:1]
                                        ; implicit-def: $vgpr4_vgpr5
.LBB10_85:
	s_andn2_saveexec_b64 s[8:9], s[8:9]
; %bb.86:
	s_mov_b32 s10, 0
	s_mov_b32 s11, 0xbfd00000
	v_fma_f64 v[0:1], v[4:5], s[10:11], 1.0
; %bb.87:
	s_or_b64 exec, exec, s[8:9]
                                        ; implicit-def: $vgpr4_vgpr5
                                        ; implicit-def: $vgpr2_vgpr3
.LBB10_88:
	s_andn2_saveexec_b64 s[8:9], s[4:5]
	s_cbranch_execz .LBB10_125
; %bb.89:
	s_mov_b32 s13, 0xbfe921fb
	s_mov_b32 s12, 0x54442d18
	;; [unrolled: 1-line block ×3, first 2 shown]
	v_add_f64 v[0:1], v[2:3], s[12:13]
	s_mov_b32 s5, 0x41d00000
	v_cmp_nlt_f64_e64 s[10:11], |v[0:1]|, s[4:5]
	v_trig_preop_f64 v[18:19], |v[0:1]|, 0
	v_trig_preop_f64 v[16:17], |v[0:1]|, 1
	;; [unrolled: 1-line block ×3, first 2 shown]
                                        ; implicit-def: $vgpr24
                                        ; implicit-def: $vgpr6_vgpr7
                                        ; implicit-def: $vgpr8_vgpr9
	s_and_saveexec_b64 s[4:5], s[10:11]
	s_xor_b64 s[14:15], exec, s[4:5]
	s_cbranch_execz .LBB10_118
; %bb.90:
	s_mov_b32 s4, 0
	s_mov_b32 s5, 0x7b000000
	s_movk_i32 s13, 0xff80
	v_and_b32_e32 v8, 0x7fffffff, v1
	v_ldexp_f64 v[6:7], |v[0:1]|, s13
	v_cmp_ge_f64_e64 vcc, |v[0:1]|, s[4:5]
	v_cndmask_b32_e32 v7, v8, v7, vcc
	v_cndmask_b32_e32 v6, v0, v6, vcc
	v_mul_f64 v[10:11], v[18:19], v[6:7]
	v_mul_f64 v[8:9], v[16:17], v[6:7]
	v_fma_f64 v[12:13], v[18:19], v[6:7], -v[10:11]
	v_add_f64 v[20:21], v[8:9], v[12:13]
	v_add_f64 v[22:23], v[10:11], v[20:21]
	s_mov_b32 s4, 0
	v_ldexp_f64 v[24:25], v[22:23], -2
	s_mov_b32 s5, 0x7ff00000
	v_fract_f64_e32 v[26:27], v[24:25]
	v_cmp_neq_f64_e64 vcc, |v[24:25]|, s[4:5]
	v_cndmask_b32_e32 v25, 0, v27, vcc
	v_cndmask_b32_e32 v24, 0, v26, vcc
	v_add_f64 v[26:27], v[20:21], -v[8:9]
	v_add_f64 v[12:13], v[12:13], -v[26:27]
	;; [unrolled: 1-line block ×4, first 2 shown]
	v_add_f64 v[12:13], v[12:13], v[26:27]
	v_fma_f64 v[8:9], v[16:17], v[6:7], -v[8:9]
	v_mul_f64 v[26:27], v[14:15], v[6:7]
	v_add_f64 v[30:31], v[26:27], v[8:9]
	v_add_f64 v[32:33], v[30:31], v[12:13]
	v_add_f64 v[10:11], v[22:23], -v[10:11]
	v_add_f64 v[22:23], v[32:33], -v[30:31]
	;; [unrolled: 1-line block ×5, first 2 shown]
	v_add_f64 v[12:13], v[12:13], v[22:23]
	v_add_f64 v[22:23], v[30:31], -v[26:27]
	v_add_f64 v[8:9], v[8:9], -v[22:23]
	;; [unrolled: 1-line block ×5, first 2 shown]
	v_add_f64 v[20:21], v[10:11], v[32:33]
	v_add_f64 v[8:9], v[8:9], v[22:23]
	v_add_f64 v[10:11], v[20:21], -v[10:11]
	v_add_f64 v[8:9], v[8:9], v[12:13]
	v_fma_f64 v[6:7], v[14:15], v[6:7], -v[26:27]
	v_add_f64 v[10:11], v[32:33], -v[10:11]
	v_add_f64 v[6:7], v[6:7], v[8:9]
	v_ldexp_f64 v[8:9], v[24:25], 2
	v_add_f64 v[6:7], v[10:11], v[6:7]
	v_add_f64 v[10:11], v[20:21], v[8:9]
	v_mov_b32_e32 v12, 0x40100000
	v_cmp_gt_f64_e32 vcc, 0, v[10:11]
	v_mov_b32_e32 v28, 0
	v_cndmask_b32_e32 v29, 0, v12, vcc
	v_add_f64 v[8:9], v[8:9], v[28:29]
	v_add_f64 v[10:11], v[20:21], v[8:9]
	v_cvt_i32_f64_e32 v12, v[10:11]
	v_cvt_f64_i32_e32 v[10:11], v12
	v_add_f64 v[8:9], v[8:9], -v[10:11]
	v_add_f64 v[10:11], v[20:21], v[8:9]
	v_add_f64 v[8:9], v[10:11], -v[8:9]
	v_add_f64 v[8:9], v[20:21], -v[8:9]
	v_add_f64 v[6:7], v[6:7], v[8:9]
	v_cmp_le_f64_e32 vcc, 0.5, v[10:11]
	v_mov_b32_e32 v8, 0x3ff00000
	v_cndmask_b32_e32 v29, 0, v8, vcc
	v_add_f64 v[8:9], v[10:11], -v[28:29]
	v_add_f64 v[10:11], v[8:9], v[6:7]
	v_addc_co_u32_e64 v24, s[4:5], 0, v12, vcc
	v_add_f64 v[8:9], v[10:11], -v[8:9]
	s_mov_b32 s13, 0x3ff921fb
	v_add_f64 v[6:7], v[6:7], -v[8:9]
	v_mul_f64 v[8:9], v[10:11], s[12:13]
	s_mov_b32 s4, 0x33145c07
	v_fma_f64 v[12:13], v[10:11], s[12:13], -v[8:9]
	s_mov_b32 s5, 0x3c91a626
	v_fmac_f64_e32 v[12:13], s[4:5], v[10:11]
	v_fmac_f64_e32 v[12:13], s[12:13], v[6:7]
	v_add_f64 v[6:7], v[8:9], v[12:13]
	v_add_f64 v[8:9], v[6:7], -v[8:9]
	v_add_f64 v[8:9], v[12:13], -v[8:9]
	s_andn2_saveexec_b64 s[4:5], s[14:15]
	s_cbranch_execz .LBB10_120
	s_branch .LBB10_119
.LBB10_91:
	s_andn2_saveexec_b64 s[10:11], s[10:11]
	s_cbranch_execz .LBB10_35
.LBB10_92:
	v_mov_b32_e32 v2, 22
	v_cmp_gt_i16_sdwa s[6:7], v3, v2 src0_sel:BYTE_0 src1_sel:DWORD
	s_mov_b64 s[14:15], s[8:9]
                                        ; implicit-def: $vgpr4_vgpr5
	s_and_saveexec_b64 s[16:17], s[6:7]
	s_xor_b64 s[6:7], exec, s[16:17]
	s_cbranch_execz .LBB10_108
; %bb.93:
	v_mov_b32_e32 v2, 23
	v_cmp_gt_i16_sdwa s[14:15], v3, v2 src0_sel:BYTE_0 src1_sel:DWORD
                                        ; implicit-def: $vgpr4_vgpr5
	s_and_saveexec_b64 s[16:17], s[14:15]
	s_xor_b64 s[14:15], exec, s[16:17]
	s_cbranch_execz .LBB10_105
; %bb.94:
	v_mov_b32_e32 v2, 24
	v_cmp_gt_i16_sdwa s[16:17], v3, v2 src0_sel:BYTE_0 src1_sel:DWORD
                                        ; implicit-def: $vgpr4_vgpr5
	s_and_saveexec_b64 s[18:19], s[16:17]
	s_xor_b64 s[16:17], exec, s[18:19]
	s_cbranch_execz .LBB10_102
; %bb.95:
	flat_load_ubyte v2, v[0:1]
	s_movk_i32 s18, 0x7f
                                        ; implicit-def: $sgpr20_sgpr21
	s_waitcnt vmcnt(0) lgkmcnt(0)
	v_cmp_lt_i16_e32 vcc, s18, v2
	s_mov_b64 s[18:19], 0
	s_and_saveexec_b64 s[22:23], vcc
	s_xor_b64 s[22:23], exec, s[22:23]
	s_cbranch_execz .LBB10_129
; %bb.96:
	s_movk_i32 s18, 0x80
	v_cmp_eq_u16_e32 vcc, s18, v2
	s_mov_b64 s[24:25], -1
                                        ; implicit-def: $sgpr20_sgpr21
	s_and_saveexec_b64 s[18:19], vcc
; %bb.97:
	s_mov_b32 s21, 0x7ff80000
	s_brev_b32 s20, 4
	s_xor_b64 s[24:25], exec, -1
; %bb.98:
	s_or_b64 exec, exec, s[18:19]
	s_and_b64 s[18:19], s[24:25], exec
	s_or_saveexec_b64 s[22:23], s[22:23]
	v_pk_mov_b32 v[4:5], s[20:21], s[20:21] op_sel:[0,1]
	s_xor_b64 exec, exec, s[22:23]
	s_cbranch_execnz .LBB10_130
.LBB10_99:
	s_or_b64 exec, exec, s[22:23]
	s_and_saveexec_b64 s[20:21], s[18:19]
	s_cbranch_execz .LBB10_101
.LBB10_100:
	v_lshlrev_b32_e32 v3, 24, v2
	v_and_b32_e32 v2, 0xffff, v2
	v_and_b32_e32 v4, 3, v2
	v_ffbh_u32_e32 v6, v4
	v_min_u32_e32 v6, 32, v6
	v_subrev_u32_e32 v7, 29, v6
	v_bfe_u32 v5, v2, 2, 5
	v_lshlrev_b32_e32 v2, v7, v2
	v_sub_u32_e32 v6, 30, v6
	v_and_b32_e32 v2, 3, v2
	v_cmp_eq_u32_e32 vcc, 0, v5
	v_cndmask_b32_e32 v5, v5, v6, vcc
	v_cndmask_b32_e32 v2, v4, v2, vcc
	v_mov_b32_e32 v4, 0x37800000
	v_lshlrev_b32_e32 v2, 21, v2
	v_and_b32_e32 v3, 0x80000000, v3
	v_lshl_add_u32 v4, v5, 23, v4
	v_or3_b32 v2, v3, v4, v2
	v_cvt_f64_f32_e32 v[4:5], v2
.LBB10_101:
	s_or_b64 exec, exec, s[20:21]
.LBB10_102:
	s_andn2_saveexec_b64 s[16:17], s[16:17]
	s_cbranch_execz .LBB10_104
; %bb.103:
	flat_load_ubyte v2, v[0:1]
	s_mov_b32 s18, 0x7f800000
	s_waitcnt vmcnt(0) lgkmcnt(0)
	v_lshlrev_b32_e32 v2, 24, v2
	v_and_b32_e32 v3, 0x7f000000, v2
	v_ffbh_u32_e32 v4, v3
	v_min_u32_e32 v4, 32, v4
	v_sub_u32_e64 v4, v4, 4 clamp
	v_lshlrev_b32_e32 v6, v4, v3
	v_lshlrev_b32_e32 v4, 23, v4
	v_lshrrev_b32_e32 v6, 4, v6
	v_add_u32_e32 v5, 0x1000000, v3
	v_sub_u32_e32 v4, v6, v4
	v_ashrrev_i32_e32 v5, 8, v5
	v_add_u32_e32 v4, 0x3c000000, v4
	v_and_or_b32 v4, v5, s18, v4
	v_cmp_ne_u32_e32 vcc, 0, v3
	v_cndmask_b32_e32 v3, 0, v4, vcc
	s_brev_b32 s18, 1
	v_and_or_b32 v2, v2, s18, v3
	v_cvt_f64_f32_e32 v[4:5], v2
.LBB10_104:
	s_or_b64 exec, exec, s[16:17]
.LBB10_105:
	s_andn2_saveexec_b64 s[14:15], s[14:15]
	s_cbranch_execz .LBB10_107
; %bb.106:
	flat_load_ubyte v2, v[0:1]
	s_movk_i32 s16, 0x7f00
	s_brev_b32 s17, 16
	s_waitcnt vmcnt(0) lgkmcnt(0)
	v_lshlrev_b16_e32 v3, 8, v2
	v_lshlrev_b32_e32 v2, 25, v2
	v_lshrrev_b32_e32 v4, 4, v2
	v_and_or_b32 v5, v3, s16, 0.5
	v_or_b32_e32 v4, 0x70000000, v4
	v_add_f32_e32 v5, -0.5, v5
	v_mul_f32_e32 v4, 0x7800000, v4
	v_cmp_gt_u32_e32 vcc, s17, v2
	v_bfe_i32 v3, v3, 0, 16
	v_cndmask_b32_e32 v2, v4, v5, vcc
	s_brev_b32 s16, 1
	v_and_or_b32 v2, v3, s16, v2
	v_cvt_f64_f32_e32 v[4:5], v2
.LBB10_107:
	s_or_b64 exec, exec, s[14:15]
	s_or_b64 s[14:15], s[8:9], exec
                                        ; implicit-def: $vgpr3
.LBB10_108:
	s_or_saveexec_b64 s[6:7], s[6:7]
	s_mov_b64 s[18:19], 0
	s_mov_b64 s[16:17], s[12:13]
	s_xor_b64 exec, exec, s[6:7]
	s_cbranch_execz .LBB10_116
; %bb.109:
	v_mov_b32_e32 v2, 14
	v_cmp_gt_i16_sdwa s[20:21], v3, v2 src0_sel:BYTE_0 src1_sel:DWORD
	s_mov_b64 s[16:17], s[12:13]
	s_mov_b64 s[18:19], s[14:15]
                                        ; implicit-def: $vgpr4_vgpr5
	s_and_saveexec_b64 s[22:23], s[20:21]
	s_xor_b64 s[20:21], exec, s[22:23]
	s_cbranch_execz .LBB10_113
; %bb.110:
	v_mov_b32_e32 v2, 15
	v_cmp_eq_u16_sdwa s[24:25], v3, v2 src0_sel:BYTE_0 src1_sel:DWORD
	s_mov_b64 s[16:17], -1
	s_mov_b64 s[18:19], s[14:15]
                                        ; implicit-def: $vgpr4_vgpr5
	s_and_saveexec_b64 s[22:23], s[24:25]
	s_cbranch_execz .LBB10_112
; %bb.111:
	flat_load_ushort v2, v[0:1]
	s_or_b64 s[18:19], s[14:15], exec
	s_xor_b64 s[16:17], exec, -1
	s_waitcnt vmcnt(0) lgkmcnt(0)
	v_lshlrev_b32_e32 v2, 16, v2
	v_cvt_f64_f32_e32 v[4:5], v2
.LBB10_112:
	s_or_b64 exec, exec, s[22:23]
	s_andn2_b64 s[22:23], s[14:15], exec
	s_and_b64 s[18:19], s[18:19], exec
	s_or_b64 s[18:19], s[22:23], s[18:19]
	s_andn2_b64 s[22:23], s[12:13], exec
	s_and_b64 s[16:17], s[16:17], exec
	s_or_b64 s[16:17], s[22:23], s[16:17]
                                        ; implicit-def: $vgpr3
.LBB10_113:
	s_or_saveexec_b64 s[20:21], s[20:21]
	s_mov_b64 s[22:23], 0
	s_xor_b64 exec, exec, s[20:21]
; %bb.114:
	v_mov_b32_e32 v2, 11
	v_cmp_ne_u16_sdwa s[24:25], v3, v2 src0_sel:BYTE_0 src1_sel:DWORD
	s_andn2_b64 s[16:17], s[16:17], exec
	s_and_b64 s[24:25], s[24:25], exec
	s_mov_b64 s[22:23], exec
	s_or_b64 s[16:17], s[16:17], s[24:25]
                                        ; implicit-def: $vgpr4_vgpr5
; %bb.115:
	s_or_b64 exec, exec, s[20:21]
	s_andn2_b64 s[14:15], s[14:15], exec
	s_and_b64 s[18:19], s[18:19], exec
	s_andn2_b64 s[20:21], s[12:13], exec
	s_and_b64 s[16:17], s[16:17], exec
	s_or_b64 s[14:15], s[14:15], s[18:19]
	s_and_b64 s[18:19], s[22:23], exec
	s_or_b64 s[16:17], s[20:21], s[16:17]
.LBB10_116:
	s_or_b64 exec, exec, s[6:7]
	s_andn2_b64 s[6:7], s[8:9], exec
	s_and_b64 s[8:9], s[14:15], exec
	s_andn2_b64 s[12:13], s[12:13], exec
	s_and_b64 s[14:15], s[16:17], exec
	s_or_b64 s[8:9], s[6:7], s[8:9]
	s_and_b64 s[6:7], s[18:19], exec
	s_or_b64 s[12:13], s[12:13], s[14:15]
	s_or_b64 exec, exec, s[10:11]
	s_and_saveexec_b64 s[10:11], s[12:13]
	s_cbranch_execz .LBB10_36
.LBB10_117:
	s_trap 2
	; divergent unreachable
	s_andn2_b64 s[6:7], s[6:7], exec
                                        ; implicit-def: $vgpr4_vgpr5
	s_or_b64 exec, exec, s[10:11]
	s_and_saveexec_b64 s[10:11], s[6:7]
	s_xor_b64 s[6:7], exec, s[10:11]
	s_cbranch_execnz .LBB10_37
	s_branch .LBB10_38
.LBB10_118:
	s_andn2_saveexec_b64 s[4:5], s[14:15]
	s_cbranch_execz .LBB10_120
.LBB10_119:
	s_mov_b32 s12, 0x6dc9c883
	s_mov_b32 s13, 0x3fe45f30
	v_mul_f64 v[6:7], |v[0:1]|, s[12:13]
	s_mov_b32 s12, 0x54442d18
	v_rndne_f64_e32 v[10:11], v[6:7]
	s_mov_b32 s13, 0xbff921fb
	v_fma_f64 v[6:7], v[10:11], s[12:13], |v[0:1]|
	s_mov_b32 s13, 0xbc91a626
	s_mov_b32 s12, 0x33145c00
	v_mul_f64 v[12:13], v[10:11], s[12:13]
	v_add_f64 v[22:23], v[6:7], v[12:13]
	v_fma_f64 v[8:9], s[12:13], v[10:11], v[6:7]
	s_mov_b32 s13, 0x3c91a626
	v_add_f64 v[6:7], v[6:7], -v[22:23]
	v_fma_f64 v[20:21], s[12:13], v[10:11], v[12:13]
	v_add_f64 v[6:7], v[6:7], v[12:13]
	v_add_f64 v[12:13], v[22:23], -v[8:9]
	v_add_f64 v[6:7], v[12:13], v[6:7]
	s_mov_b32 s12, 0x252049c0
	v_add_f64 v[12:13], v[6:7], -v[20:21]
	s_mov_b32 s13, 0xb97b839a
	v_fmac_f64_e32 v[12:13], s[12:13], v[10:11]
	v_add_f64 v[6:7], v[8:9], v[12:13]
	v_add_f64 v[8:9], v[6:7], -v[8:9]
	v_add_f64 v[8:9], v[12:13], -v[8:9]
	v_cvt_i32_f64_e32 v24, v[10:11]
.LBB10_120:
	s_or_b64 exec, exec, s[4:5]
                                        ; implicit-def: $vgpr25
                                        ; implicit-def: $vgpr10_vgpr11
                                        ; implicit-def: $vgpr12_vgpr13
	s_and_saveexec_b64 s[4:5], s[10:11]
	s_xor_b64 s[10:11], exec, s[4:5]
	s_cbranch_execz .LBB10_122
; %bb.121:
	s_mov_b32 s4, 0
	s_mov_b32 s5, 0x7b000000
	s_movk_i32 s12, 0xff80
	v_and_b32_e32 v12, 0x7fffffff, v1
	v_ldexp_f64 v[10:11], |v[0:1]|, s12
	v_cmp_ge_f64_e64 vcc, |v[0:1]|, s[4:5]
	v_cndmask_b32_e32 v11, v12, v11, vcc
	v_cndmask_b32_e32 v10, v0, v10, vcc
	v_mul_f64 v[20:21], v[18:19], v[10:11]
	v_mul_f64 v[12:13], v[16:17], v[10:11]
	v_fma_f64 v[18:19], v[18:19], v[10:11], -v[20:21]
	v_add_f64 v[22:23], v[12:13], v[18:19]
	v_add_f64 v[26:27], v[20:21], v[22:23]
	s_mov_b32 s4, 0
	v_ldexp_f64 v[28:29], v[26:27], -2
	s_mov_b32 s5, 0x7ff00000
	v_fract_f64_e32 v[30:31], v[28:29]
	v_cmp_neq_f64_e64 vcc, |v[28:29]|, s[4:5]
	v_cndmask_b32_e32 v29, 0, v31, vcc
	v_cndmask_b32_e32 v28, 0, v30, vcc
	v_add_f64 v[30:31], v[22:23], -v[12:13]
	v_add_f64 v[18:19], v[18:19], -v[30:31]
	;; [unrolled: 1-line block ×4, first 2 shown]
	v_fma_f64 v[12:13], v[16:17], v[10:11], -v[12:13]
	v_mul_f64 v[16:17], v[14:15], v[10:11]
	v_add_f64 v[18:19], v[18:19], v[30:31]
	v_add_f64 v[30:31], v[16:17], v[12:13]
	;; [unrolled: 1-line block ×3, first 2 shown]
	v_add_f64 v[20:21], v[26:27], -v[20:21]
	v_add_f64 v[26:27], v[34:35], -v[30:31]
	;; [unrolled: 1-line block ×5, first 2 shown]
	v_add_f64 v[18:19], v[18:19], v[26:27]
	v_add_f64 v[26:27], v[30:31], -v[16:17]
	v_add_f64 v[12:13], v[12:13], -v[26:27]
	;; [unrolled: 1-line block ×4, first 2 shown]
	v_add_f64 v[12:13], v[12:13], v[26:27]
	v_add_f64 v[20:21], v[22:23], -v[20:21]
	v_add_f64 v[12:13], v[12:13], v[18:19]
	v_fma_f64 v[10:11], v[14:15], v[10:11], -v[16:17]
	v_add_f64 v[22:23], v[20:21], v[34:35]
	v_add_f64 v[10:11], v[10:11], v[12:13]
	v_ldexp_f64 v[12:13], v[28:29], 2
	v_add_f64 v[14:15], v[22:23], v[12:13]
	v_mov_b32_e32 v16, 0x40100000
	v_cmp_gt_f64_e32 vcc, 0, v[14:15]
	v_mov_b32_e32 v32, 0
	v_cndmask_b32_e32 v33, 0, v16, vcc
	v_add_f64 v[12:13], v[12:13], v[32:33]
	v_add_f64 v[14:15], v[22:23], v[12:13]
	v_cvt_i32_f64_e32 v16, v[14:15]
	v_cvt_f64_i32_e32 v[14:15], v16
	v_add_f64 v[12:13], v[12:13], -v[14:15]
	v_add_f64 v[20:21], v[22:23], -v[20:21]
	v_add_f64 v[14:15], v[22:23], v[12:13]
	v_add_f64 v[20:21], v[34:35], -v[20:21]
	v_add_f64 v[12:13], v[14:15], -v[12:13]
	v_add_f64 v[10:11], v[20:21], v[10:11]
	v_add_f64 v[12:13], v[22:23], -v[12:13]
	v_add_f64 v[10:11], v[10:11], v[12:13]
	v_cmp_le_f64_e32 vcc, 0.5, v[14:15]
	v_mov_b32_e32 v12, 0x3ff00000
	v_cndmask_b32_e32 v33, 0, v12, vcc
	v_addc_co_u32_e64 v25, s[4:5], 0, v16, vcc
	v_add_f64 v[12:13], v[14:15], -v[32:33]
	v_add_f64 v[14:15], v[12:13], v[10:11]
	s_mov_b32 s4, 0x54442d18
	v_add_f64 v[12:13], v[14:15], -v[12:13]
	s_mov_b32 s5, 0x3ff921fb
	v_add_f64 v[10:11], v[10:11], -v[12:13]
	v_mul_f64 v[12:13], v[14:15], s[4:5]
	s_mov_b32 s12, 0x33145c07
	v_fma_f64 v[16:17], v[14:15], s[4:5], -v[12:13]
	s_mov_b32 s13, 0x3c91a626
	v_fmac_f64_e32 v[16:17], s[12:13], v[14:15]
	v_fmac_f64_e32 v[16:17], s[4:5], v[10:11]
	v_add_f64 v[10:11], v[12:13], v[16:17]
	v_add_f64 v[12:13], v[10:11], -v[12:13]
	v_add_f64 v[12:13], v[16:17], -v[12:13]
	s_andn2_saveexec_b64 s[4:5], s[10:11]
	s_cbranch_execnz .LBB10_123
	s_branch .LBB10_124
.LBB10_122:
	s_andn2_saveexec_b64 s[4:5], s[10:11]
	s_cbranch_execz .LBB10_124
.LBB10_123:
	s_mov_b32 s10, 0x6dc9c883
	s_mov_b32 s11, 0x3fe45f30
	v_mul_f64 v[10:11], |v[0:1]|, s[10:11]
	s_mov_b32 s10, 0x54442d18
	v_rndne_f64_e32 v[14:15], v[10:11]
	s_mov_b32 s11, 0xbff921fb
	v_fma_f64 v[10:11], v[14:15], s[10:11], |v[0:1]|
	s_mov_b32 s11, 0xbc91a626
	s_mov_b32 s10, 0x33145c00
	v_mul_f64 v[16:17], v[14:15], s[10:11]
	v_add_f64 v[20:21], v[10:11], v[16:17]
	v_fma_f64 v[12:13], s[10:11], v[14:15], v[10:11]
	s_mov_b32 s11, 0x3c91a626
	v_add_f64 v[10:11], v[10:11], -v[20:21]
	v_fma_f64 v[18:19], s[10:11], v[14:15], v[16:17]
	v_add_f64 v[10:11], v[10:11], v[16:17]
	v_add_f64 v[16:17], v[20:21], -v[12:13]
	v_add_f64 v[10:11], v[16:17], v[10:11]
	s_mov_b32 s10, 0x252049c0
	v_add_f64 v[16:17], v[10:11], -v[18:19]
	s_mov_b32 s11, 0xb97b839a
	v_fmac_f64_e32 v[16:17], s[10:11], v[14:15]
	v_add_f64 v[10:11], v[12:13], v[16:17]
	v_add_f64 v[12:13], v[10:11], -v[12:13]
	v_add_f64 v[12:13], v[16:17], -v[12:13]
	v_cvt_i32_f64_e32 v25, v[14:15]
.LBB10_124:
	s_or_b64 exec, exec, s[4:5]
	s_mov_b32 s4, 0
	s_mov_b32 s5, 0x40390000
	v_div_scale_f64 v[14:15], s[10:11], v[4:5], v[4:5], s[4:5]
	v_rcp_f64_e32 v[16:17], v[14:15]
	v_mov_b32_e32 v22, 0x55b218cd
	v_mov_b32_e32 v23, 0xc049b48c
	s_mov_b32 s10, 0x46cc5e42
	v_fma_f64 v[18:19], -v[14:15], v[16:17], 1.0
	v_fmac_f64_e32 v[16:17], v[16:17], v[18:19]
	v_fma_f64 v[18:19], -v[14:15], v[16:17], 1.0
	v_fmac_f64_e32 v[16:17], v[16:17], v[18:19]
	v_div_scale_f64 v[18:19], vcc, s[4:5], v[4:5], s[4:5]
	v_mul_f64 v[20:21], v[18:19], v[16:17]
	v_fma_f64 v[14:15], -v[14:15], v[20:21], v[18:19]
	v_mov_b32_e32 v18, 0xab5454e3
	s_nop 0
	v_div_fmas_f64 v[14:15], v[14:15], v[16:17], v[20:21]
	v_div_fixup_f64 v[14:15], v[14:15], v[4:5], s[4:5]
	v_mov_b32_e32 v4, 0x983b6b27
	v_mov_b32_e32 v5, 0x3f4a1d30
	v_fmac_f64_e32 v[4:5], 0, v[14:15]
	v_mov_b32_e32 v16, 0xb35dd1cf
	v_mov_b32_e32 v17, 0x3fb534b0
	v_fmac_f64_e32 v[16:17], v[14:15], v[4:5]
	;; [unrolled: 3-line block ×7, first 2 shown]
	v_mov_b32_e32 v19, 0x3fb5ebc5
	v_fmac_f64_e32 v[18:19], v[14:15], v[4:5]
	v_mov_b32_e32 v4, 0xc9b3069f
	v_mov_b32_e32 v5, 0x3ff40e72
	v_fmac_f64_e32 v[4:5], v[14:15], v[18:19]
	v_mov_b32_e32 v18, 0xe68162bb
	;; [unrolled: 3-line block ×10, first 2 shown]
	v_mov_b32_e32 v21, 0xc062627a
	v_fmac_f64_e32 v[20:21], v[14:15], v[4:5]
	v_fmac_f64_e32 v[22:23], v[14:15], v[20:21]
	v_mov_b32_e32 v4, 0xd1b9a1dd
	v_mov_b32_e32 v5, 0xc0183358
	;; [unrolled: 1-line block ×4, first 2 shown]
	v_fmac_f64_e32 v[4:5], v[14:15], v[22:23]
	v_fmac_f64_e32 v[20:21], 0, v[14:15]
	v_mov_b32_e32 v22, 0xb1759c7f
	v_mov_b32_e32 v23, 0x408ac370
	v_fmac_f64_e32 v[22:23], v[14:15], v[20:21]
	v_mov_b32_e32 v20, 0xbd748cb5
	v_mov_b32_e32 v21, 0x40ae54cd
	;; [unrolled: 3-line block ×5, first 2 shown]
	v_fma_f64 v[18:19], v[14:15], v[18:19], 1.0
	v_fmac_f64_e32 v[22:23], v[14:15], v[20:21]
	v_fma_f64 v[20:21], v[14:15], v[16:17], 1.0
	v_div_scale_f64 v[26:27], s[4:5], v[18:19], v[18:19], v[20:21]
	v_rcp_f64_e32 v[28:29], v[26:27]
	v_mov_b32_e32 v16, 0x6280a54
	v_mov_b32_e32 v17, 0x406e402f
	v_fmac_f64_e32 v[16:17], v[14:15], v[22:23]
	v_fma_f64 v[14:15], -v[26:27], v[28:29], 1.0
	v_fmac_f64_e32 v[28:29], v[28:29], v[14:15]
	v_fma_f64 v[14:15], -v[26:27], v[28:29], 1.0
	v_fmac_f64_e32 v[28:29], v[28:29], v[14:15]
	v_div_scale_f64 v[14:15], vcc, v[20:21], v[18:19], v[20:21]
	v_mul_f64 v[22:23], v[14:15], v[28:29]
	v_fma_f64 v[14:15], -v[26:27], v[22:23], v[14:15]
	s_mov_b32 s4, 0x9037ab78
	s_nop 0
	v_div_fmas_f64 v[14:15], v[14:15], v[28:29], v[22:23]
	v_mul_f64 v[22:23], v[6:7], v[6:7]
	v_div_fixup_f64 v[14:15], v[14:15], v[18:19], v[20:21]
	v_mul_f64 v[18:19], v[22:23], 0.5
	v_add_f64 v[20:21], -v[18:19], 1.0
	v_add_f64 v[26:27], -v[20:21], 1.0
	s_mov_b32 s5, 0x3e21eeb6
	v_add_f64 v[26:27], v[26:27], -v[18:19]
	s_mov_b32 s11, 0xbda907db
	v_pk_mov_b32 v[18:19], s[4:5], s[4:5] op_sel:[0,1]
	s_mov_b32 s12, 0xa17f65f6
	v_fma_f64 v[30:31], s[10:11], v[22:23], v[18:19]
	s_mov_b32 s13, 0xbe927e4f
	s_mov_b32 s14, 0x19f4ec90
	v_fma_f64 v[30:31], v[22:23], v[30:31], s[12:13]
	s_mov_b32 s15, 0x3efa01a0
	;; [unrolled: 3-line block ×4, first 2 shown]
	v_mul_f64 v[28:29], v[22:23], v[22:23]
	v_fma_f64 v[30:31], v[22:23], v[30:31], s[18:19]
	v_fma_f64 v[26:27], v[6:7], -v[8:9], v[26:27]
	s_mov_b32 s4, 0xb42fdfa7
	v_fmac_f64_e32 v[26:27], v[28:29], v[30:31]
	s_mov_b32 s5, 0xbe5ae600
	s_mov_b32 s20, 0xf9a43bb8
	v_add_f64 v[26:27], v[20:21], v[26:27]
	s_mov_b32 s21, 0x3de5e0b2
	v_pk_mov_b32 v[20:21], s[4:5], s[4:5] op_sel:[0,1]
	s_mov_b32 s22, 0x796cde01
	v_fma_f64 v[28:29], s[20:21], v[22:23], v[20:21]
	s_mov_b32 s23, 0x3ec71de3
	s_mov_b32 s24, 0x19e83e5c
	v_fma_f64 v[28:29], v[22:23], v[28:29], s[22:23]
	s_mov_b32 s25, 0xbf2a01a0
	;; [unrolled: 3-line block ×3, first 2 shown]
	v_fma_f64 v[28:29], v[22:23], v[28:29], s[26:27]
	v_mul_f64 v[30:31], v[6:7], -v[22:23]
	v_mul_f64 v[32:33], v[8:9], 0.5
	v_fmac_f64_e32 v[32:33], v[30:31], v[28:29]
	v_fma_f64 v[8:9], v[22:23], v[32:33], -v[8:9]
	s_mov_b32 s29, 0xbfc55555
	s_mov_b32 s28, s18
	v_fmac_f64_e32 v[8:9], s[28:29], v[30:31]
	v_add_f64 v[6:7], v[6:7], -v[8:9]
	v_and_b32_e32 v8, 1, v24
	v_xor_b32_e32 v7, 0x80000000, v7
	v_cmp_eq_u32_e32 vcc, 0, v8
	v_lshlrev_b32_e32 v8, 30, v24
	s_mov_b32 s30, 0
	v_cndmask_b32_e32 v7, v7, v27, vcc
	v_and_b32_e32 v8, 0x80000000, v8
	s_mov_b32 s31, 0xc0140000
	v_xor_b32_e32 v7, v7, v8
	v_div_scale_f64 v[8:9], s[4:5], v[2:3], v[2:3], s[30:31]
	v_rcp_f64_e32 v[22:23], v[8:9]
	v_cndmask_b32_e32 v6, v6, v26, vcc
	s_movk_i32 vcc_lo, 0x1f8
	v_cmp_class_f64_e64 s[4:5], v[0:1], vcc_lo
	v_fma_f64 v[26:27], -v[8:9], v[22:23], 1.0
	v_fmac_f64_e32 v[22:23], v[22:23], v[26:27]
	v_fma_f64 v[26:27], -v[8:9], v[22:23], 1.0
	v_fmac_f64_e32 v[22:23], v[22:23], v[26:27]
	v_div_scale_f64 v[26:27], vcc, s[30:31], v[2:3], s[30:31]
	v_mul_f64 v[28:29], v[26:27], v[22:23]
	v_fma_f64 v[8:9], -v[8:9], v[28:29], v[26:27]
	v_div_scale_f64 v[26:27], s[34:35], v[16:17], v[16:17], v[4:5]
	v_rcp_f64_e32 v[30:31], v[26:27]
	v_div_fmas_f64 v[8:9], v[8:9], v[22:23], v[28:29]
	v_div_fixup_f64 v[8:9], v[8:9], v[2:3], s[30:31]
	v_and_b32_e32 v0, 1, v25
	v_fma_f64 v[22:23], -v[26:27], v[30:31], 1.0
	v_fmac_f64_e32 v[30:31], v[30:31], v[22:23]
	v_fma_f64 v[22:23], -v[26:27], v[30:31], 1.0
	v_fmac_f64_e32 v[30:31], v[30:31], v[22:23]
	v_div_scale_f64 v[22:23], vcc, v[4:5], v[16:17], v[4:5]
	v_mul_f64 v[28:29], v[22:23], v[30:31]
	v_fma_f64 v[22:23], -v[26:27], v[28:29], v[22:23]
	v_mov_b32_e32 v24, 0x7ff80000
	s_nop 0
	v_div_fmas_f64 v[22:23], v[22:23], v[30:31], v[28:29]
	v_div_fixup_f64 v[4:5], v[22:23], v[16:17], v[4:5]
	v_mul_f64 v[4:5], v[8:9], v[4:5]
	v_mul_f64 v[8:9], v[10:11], v[10:11]
	v_mul_f64 v[16:17], v[8:9], 0.5
	v_fmac_f64_e32 v[18:19], s[10:11], v[8:9]
	v_add_f64 v[22:23], -v[16:17], 1.0
	v_fma_f64 v[18:19], v[8:9], v[18:19], s[12:13]
	v_add_f64 v[26:27], -v[22:23], 1.0
	v_fma_f64 v[18:19], v[8:9], v[18:19], s[14:15]
	v_add_f64 v[16:17], v[26:27], -v[16:17]
	v_fma_f64 v[18:19], v[8:9], v[18:19], s[16:17]
	v_mul_f64 v[26:27], v[8:9], v[8:9]
	v_fma_f64 v[18:19], v[8:9], v[18:19], s[18:19]
	v_fma_f64 v[16:17], v[10:11], -v[12:13], v[16:17]
	v_fmac_f64_e32 v[20:21], s[20:21], v[8:9]
	v_fmac_f64_e32 v[16:17], v[26:27], v[18:19]
	v_fma_f64 v[18:19], v[8:9], v[20:21], s[22:23]
	v_fma_f64 v[18:19], v[8:9], v[18:19], s[24:25]
	v_add_f64 v[16:17], v[22:23], v[16:17]
	v_fma_f64 v[18:19], v[8:9], v[18:19], s[26:27]
	v_mul_f64 v[20:21], v[10:11], -v[8:9]
	v_mul_f64 v[22:23], v[12:13], 0.5
	v_fmac_f64_e32 v[22:23], v[20:21], v[18:19]
	v_fma_f64 v[8:9], v[8:9], v[22:23], -v[12:13]
	v_fmac_f64_e32 v[8:9], s[28:29], v[20:21]
	v_add_f64 v[8:9], v[10:11], -v[8:9]
	v_cmp_eq_u32_e32 vcc, 0, v0
	v_cndmask_b32_e32 v0, v16, v8, vcc
	v_cndmask_b32_e32 v8, v17, v9, vcc
	v_lshlrev_b32_e32 v9, 30, v25
	v_xor_b32_e32 v1, v9, v1
	v_and_b32_e32 v1, 0x80000000, v1
	v_xor_b32_e32 v1, v8, v1
	v_cndmask_b32_e64 v6, 0, v6, s[4:5]
	v_cndmask_b32_e64 v7, v24, v7, s[4:5]
	;; [unrolled: 1-line block ×4, first 2 shown]
	s_mov_b32 s4, 0
	s_brev_b32 s5, 8
	v_cmp_gt_f64_e32 vcc, s[4:5], v[2:3]
	v_mul_f64 v[0:1], v[4:5], v[0:1]
	v_cndmask_b32_e64 v4, 0, 1, vcc
	v_lshlrev_b32_e32 v4, 8, v4
	v_ldexp_f64 v[2:3], v[2:3], v4
	v_rsq_f64_e32 v[4:5], v[2:3]
	v_fmac_f64_e32 v[0:1], v[14:15], v[6:7]
	s_mov_b32 s4, 0x33d43651
	s_mov_b32 s5, 0x3fe98845
	v_mul_f64 v[6:7], v[2:3], v[4:5]
	v_mul_f64 v[4:5], v[4:5], 0.5
	v_fma_f64 v[8:9], -v[4:5], v[6:7], 0.5
	v_fmac_f64_e32 v[6:7], v[6:7], v[8:9]
	v_fma_f64 v[10:11], -v[6:7], v[6:7], v[2:3]
	v_fmac_f64_e32 v[4:5], v[4:5], v[8:9]
	v_fmac_f64_e32 v[6:7], v[10:11], v[4:5]
	v_fma_f64 v[8:9], -v[6:7], v[6:7], v[2:3]
	v_fmac_f64_e32 v[6:7], v[8:9], v[4:5]
	v_mov_b32_e32 v4, 0xffffff80
	v_cndmask_b32_e32 v4, 0, v4, vcc
	v_ldexp_f64 v[4:5], v[6:7], v4
	v_mov_b32_e32 v6, 0x260
	v_cmp_class_f64_e32 vcc, v[2:3], v6
	v_mul_f64 v[0:1], v[0:1], s[4:5]
	v_cndmask_b32_e32 v3, v5, v3, vcc
	v_cndmask_b32_e32 v2, v4, v2, vcc
	v_div_scale_f64 v[4:5], s[4:5], v[2:3], v[2:3], v[0:1]
	v_rcp_f64_e32 v[6:7], v[4:5]
	v_fma_f64 v[8:9], -v[4:5], v[6:7], 1.0
	v_fmac_f64_e32 v[6:7], v[6:7], v[8:9]
	v_fma_f64 v[8:9], -v[4:5], v[6:7], 1.0
	v_fmac_f64_e32 v[6:7], v[6:7], v[8:9]
	v_div_scale_f64 v[8:9], vcc, v[0:1], v[2:3], v[0:1]
	v_mul_f64 v[10:11], v[8:9], v[6:7]
	v_fma_f64 v[4:5], -v[4:5], v[10:11], v[8:9]
	s_nop 1
	v_div_fmas_f64 v[4:5], v[4:5], v[6:7], v[10:11]
	v_div_fixup_f64 v[0:1], v[4:5], v[2:3], v[0:1]
.LBB10_125:
	s_or_b64 exec, exec, s[8:9]
.LBB10_126:
	s_or_b64 exec, exec, s[6:7]
	v_readlane_b32 s30, v36, 2
	v_readlane_b32 s31, v36, 3
	;; [unrolled: 1-line block ×4, first 2 shown]
	s_xor_saveexec_b64 s[4:5], -1
	buffer_load_dword v36, off, s[0:3], s32 ; 4-byte Folded Reload
	s_mov_b64 exec, s[4:5]
	s_waitcnt vmcnt(0) lgkmcnt(0)
	s_setpc_b64 s[30:31]
.LBB10_127:
	s_or_saveexec_b64 s[22:23], s[22:23]
	v_pk_mov_b32 v[4:5], s[20:21], s[20:21] op_sel:[0,1]
	s_xor_b64 exec, exec, s[22:23]
	s_cbranch_execz .LBB10_30
.LBB10_128:
	v_cmp_ne_u16_e32 vcc, 0, v2
	s_andn2_b64 s[18:19], s[18:19], exec
	s_and_b64 s[20:21], vcc, exec
	v_pk_mov_b32 v[4:5], 0, 0
	s_or_b64 s[18:19], s[18:19], s[20:21]
	s_or_b64 exec, exec, s[22:23]
	s_and_saveexec_b64 s[20:21], s[18:19]
	s_cbranch_execnz .LBB10_31
	s_branch .LBB10_32
.LBB10_129:
	s_or_saveexec_b64 s[22:23], s[22:23]
	v_pk_mov_b32 v[4:5], s[20:21], s[20:21] op_sel:[0,1]
	s_xor_b64 exec, exec, s[22:23]
	s_cbranch_execz .LBB10_99
.LBB10_130:
	v_cmp_ne_u16_e32 vcc, 0, v2
	s_andn2_b64 s[18:19], s[18:19], exec
	s_and_b64 s[20:21], vcc, exec
	v_pk_mov_b32 v[4:5], 0, 0
	s_or_b64 s[18:19], s[18:19], s[20:21]
	s_or_b64 exec, exec, s[22:23]
	s_and_saveexec_b64 s[20:21], s[18:19]
	s_cbranch_execnz .LBB10_100
	s_branch .LBB10_101
.Lfunc_end10:
	.size	_ZN2at6native6invokeIZZZNS0_12_GLOBAL__N_121bessel_j0_kernel_cudaERNS_18TensorIteratorBaseEENKUlvE_clEvENKUlvE_clEvEUldE_j15function_traitsIS7_EEENT1_11result_typeERKT_PrKPcPKT0_PKN3c1010ScalarTypeEi, .Lfunc_end10-_ZN2at6native6invokeIZZZNS0_12_GLOBAL__N_121bessel_j0_kernel_cudaERNS_18TensorIteratorBaseEENKUlvE_clEvENKUlvE_clEvEUldE_j15function_traitsIS7_EEENT1_11result_typeERKT_PrKPcPKT0_PKN3c1010ScalarTypeEi
                                        ; -- End function
	.section	.AMDGPU.csdata,"",@progbits
; Function info:
; codeLenInByte = 6604
; NumSgprs: 40
; NumVgprs: 37
; NumAgprs: 0
; TotalNumVgprs: 37
; ScratchSize: 8
; MemoryBound: 1
	.section	.text._ZN2at6native32elementwise_kernel_manual_unrollILi128ELi4EZNS0_15gpu_kernel_implIZZZNS0_12_GLOBAL__N_121bessel_j0_kernel_cudaERNS_18TensorIteratorBaseEENKUlvE_clEvENKUlvE_clEvEUldE_EEvS5_RKT_EUlibE0_EEviT1_,"axG",@progbits,_ZN2at6native32elementwise_kernel_manual_unrollILi128ELi4EZNS0_15gpu_kernel_implIZZZNS0_12_GLOBAL__N_121bessel_j0_kernel_cudaERNS_18TensorIteratorBaseEENKUlvE_clEvENKUlvE_clEvEUldE_EEvS5_RKT_EUlibE0_EEviT1_,comdat
	.globl	_ZN2at6native32elementwise_kernel_manual_unrollILi128ELi4EZNS0_15gpu_kernel_implIZZZNS0_12_GLOBAL__N_121bessel_j0_kernel_cudaERNS_18TensorIteratorBaseEENKUlvE_clEvENKUlvE_clEvEUldE_EEvS5_RKT_EUlibE0_EEviT1_ ; -- Begin function _ZN2at6native32elementwise_kernel_manual_unrollILi128ELi4EZNS0_15gpu_kernel_implIZZZNS0_12_GLOBAL__N_121bessel_j0_kernel_cudaERNS_18TensorIteratorBaseEENKUlvE_clEvENKUlvE_clEvEUldE_EEvS5_RKT_EUlibE0_EEviT1_
	.p2align	8
	.type	_ZN2at6native32elementwise_kernel_manual_unrollILi128ELi4EZNS0_15gpu_kernel_implIZZZNS0_12_GLOBAL__N_121bessel_j0_kernel_cudaERNS_18TensorIteratorBaseEENKUlvE_clEvENKUlvE_clEvEUldE_EEvS5_RKT_EUlibE0_EEviT1_,@function
_ZN2at6native32elementwise_kernel_manual_unrollILi128ELi4EZNS0_15gpu_kernel_implIZZZNS0_12_GLOBAL__N_121bessel_j0_kernel_cudaERNS_18TensorIteratorBaseEENKUlvE_clEvENKUlvE_clEvEUldE_EEvS5_RKT_EUlibE0_EEviT1_: ; @_ZN2at6native32elementwise_kernel_manual_unrollILi128ELi4EZNS0_15gpu_kernel_implIZZZNS0_12_GLOBAL__N_121bessel_j0_kernel_cudaERNS_18TensorIteratorBaseEENKUlvE_clEvENKUlvE_clEvEUldE_EEvS5_RKT_EUlibE0_EEviT1_
; %bb.0:
	s_load_dword s78, s[4:5], 0x0
	s_load_dword s33, s[4:5], 0x8
	s_add_u32 flat_scratch_lo, s6, s9
	s_addc_u32 flat_scratch_hi, s7, 0
	s_add_u32 s0, s0, s9
	s_mov_b64 s[36:37], s[4:5]
	s_addc_u32 s1, s1, 0
	s_or_b32 s38, s36, 8
	v_lshl_or_b32 v40, s8, 9, v0
	s_waitcnt lgkmcnt(0)
	s_add_i32 s80, s33, -1
	v_or_b32_e32 v6, 0x180, v40
	s_cmp_gt_u32 s80, 1
	s_mov_b32 s39, s5
	v_cmp_le_i32_e32 vcc, s78, v6
	s_cselect_b64 s[54:55], -1, 0
	s_mov_b64 s[52:53], 0
	s_mov_b64 s[44:45], 0
	s_mov_b32 s32, 0
	s_and_saveexec_b64 s[4:5], vcc
	s_xor_b64 s[56:57], exec, s[4:5]
	s_cbranch_execz .LBB11_570
; %bb.1:
	v_mov_b32_e32 v0, 0
	global_load_ushort v41, v0, s[38:39] offset:345
	s_load_dwordx4 s[48:51], s[38:39], 0x4
	s_load_dwordx2 s[58:59], s[38:39], 0x14
	s_load_dwordx4 s[44:47], s[38:39], 0xc4
	s_load_dwordx4 s[40:43], s[38:39], 0x148
	s_cmp_lg_u32 s33, 0
	s_cselect_b64 s[64:65], -1, 0
	s_add_u32 s62, s38, 0xc4
	s_addc_u32 s63, s39, 0
	s_min_u32 s81, s80, 15
	s_cmp_gt_u32 s33, 1
	v_cmp_gt_i32_e32 vcc, s78, v40
	s_mov_b64 s[4:5], -1
	s_mov_b64 s[72:73], 0
	s_cselect_b64 s[60:61], -1, 0
	s_mov_b64 s[66:67], 0
	s_waitcnt vmcnt(0)
	v_lshrrev_b16_e32 v37, 8, v41
	s_and_saveexec_b64 s[68:69], vcc
                                        ; implicit-def: $vgpr2_vgpr3
	s_cbranch_execz .LBB11_139
; %bb.2:
	s_andn2_b64 vcc, exec, s[54:55]
	s_cbranch_vccnz .LBB11_8
; %bb.3:
	s_mov_b32 s24, 0
	s_andn2_b64 vcc, exec, s[64:65]
	v_mov_b32_e32 v2, 0
	v_mov_b32_e32 v38, 0
	s_cbranch_vccnz .LBB11_14
; %bb.4:
	s_add_i32 s30, s81, 1
	s_cmp_eq_u32 s80, 2
	s_cbranch_scc1 .LBB11_9
; %bb.5:
	s_and_b32 s24, s30, 28
	s_mov_b32 s25, 0
	v_mov_b32_e32 v38, 0
	s_mov_b64 s[26:27], s[38:39]
	s_mov_b64 s[28:29], s[62:63]
	v_mov_b32_e32 v0, v40
	v_mov_b32_e32 v2, 0
.LBB11_6:                               ; =>This Inner Loop Header: Depth=1
	s_load_dwordx8 s[12:19], s[26:27], 0x4
	s_load_dwordx4 s[20:23], s[26:27], 0x24
	s_load_dwordx8 s[4:11], s[28:29], 0x0
	s_add_u32 s26, s26, 48
	s_addc_u32 s27, s27, 0
	s_waitcnt lgkmcnt(0)
	v_mul_hi_u32 v1, s13, v0
	v_add_u32_e32 v1, v0, v1
	v_lshrrev_b32_e32 v1, s14, v1
	v_mul_lo_u32 v3, v1, s12
	v_mul_hi_u32 v4, s16, v1
	v_sub_u32_e32 v0, v0, v3
	v_add_u32_e32 v3, v1, v4
	v_lshrrev_b32_e32 v3, s17, v3
	v_mul_lo_u32 v5, v3, s15
	v_mul_hi_u32 v6, s19, v3
	v_sub_u32_e32 v1, v1, v5
	v_add_u32_e32 v5, v3, v6
	v_mul_lo_u32 v4, v0, s5
	v_mul_lo_u32 v0, v0, s4
	;; [unrolled: 1-line block ×4, first 2 shown]
	v_lshrrev_b32_e32 v5, s20, v5
	v_add3_u32 v1, v0, v38, v1
	v_add3_u32 v2, v4, v2, v6
	v_mul_lo_u32 v0, v5, s18
	v_mul_hi_u32 v4, s22, v5
	v_sub_u32_e32 v0, v3, v0
	v_add_u32_e32 v3, v5, v4
	v_mul_lo_u32 v4, v0, s8
	v_mul_lo_u32 v6, v0, s9
	v_lshrrev_b32_e32 v0, s23, v3
	s_add_i32 s25, s25, 4
	v_mul_lo_u32 v3, v0, s21
	s_add_u32 s28, s28, 32
	v_sub_u32_e32 v3, v5, v3
	s_addc_u32 s29, s29, 0
	v_mul_lo_u32 v5, v3, s10
	v_mul_lo_u32 v3, v3, s11
	s_cmp_lg_u32 s24, s25
	v_add3_u32 v2, v6, v2, v3
	v_add3_u32 v38, v4, v1, v5
	s_cbranch_scc1 .LBB11_6
; %bb.7:
	v_mov_b32_e32 v39, v2
	s_branch .LBB11_10
.LBB11_8:
                                        ; implicit-def: $vgpr2
                                        ; implicit-def: $vgpr38
	s_andn2_b64 vcc, exec, s[4:5]
	s_cbranch_vccz .LBB11_15
	s_branch .LBB11_17
.LBB11_9:
	s_mov_b32 s25, s24
	v_pk_mov_b32 v[38:39], s[24:25], s[24:25] op_sel:[0,1]
                                        ; implicit-def: $vgpr2
	v_mov_b32_e32 v0, v40
.LBB11_10:
	s_and_b32 s8, s30, 3
	s_cmp_eq_u32 s8, 0
	s_cbranch_scc1 .LBB11_14
; %bb.11:
	s_lshl_b32 s4, s24, 3
	s_add_u32 s4, s4, s38
	s_addc_u32 s5, s39, 0
	s_add_u32 s4, s4, 0xc4
	s_addc_u32 s5, s5, 0
	s_mul_i32 s6, s24, 12
	s_add_u32 s6, s38, s6
	s_addc_u32 s7, s39, 0
.LBB11_12:                              ; =>This Inner Loop Header: Depth=1
	s_load_dwordx2 s[10:11], s[6:7], 0x4
	s_load_dword s9, s[6:7], 0xc
	s_load_dwordx2 s[12:13], s[4:5], 0x0
	s_add_u32 s6, s6, 12
	s_addc_u32 s7, s7, 0
	s_waitcnt lgkmcnt(0)
	v_mul_hi_u32 v1, s11, v0
	v_add_u32_e32 v1, v0, v1
	v_lshrrev_b32_e32 v1, s9, v1
	v_mul_lo_u32 v3, v1, s10
	v_mov_b32_e32 v2, v39
	s_add_u32 s4, s4, 8
	v_sub_u32_e32 v4, v0, v3
	s_addc_u32 s5, s5, 0
	s_add_i32 s8, s8, -1
	v_mad_u64_u32 v[2:3], s[10:11], v4, s13, v[2:3]
	v_mad_u64_u32 v[38:39], s[10:11], v4, s12, v[38:39]
	s_cmp_lg_u32 s8, 0
	v_mov_b32_e32 v0, v1
	v_mov_b32_e32 v39, v2
	s_cbranch_scc1 .LBB11_12
; %bb.13:
	v_mov_b32_e32 v2, v39
.LBB11_14:
	s_cbranch_execnz .LBB11_17
.LBB11_15:
	s_waitcnt lgkmcnt(0)
	v_mul_hi_u32 v0, s49, v40
	v_add_u32_e32 v0, v40, v0
	v_lshrrev_b32_e32 v0, s50, v0
	v_mul_lo_u32 v1, v0, s48
	v_sub_u32_e32 v1, v40, v1
	v_mul_lo_u32 v2, v1, s45
	s_andn2_b64 vcc, exec, s[60:61]
	v_mul_lo_u32 v38, v1, s44
	s_cbranch_vccnz .LBB11_17
; %bb.16:
	v_mul_hi_u32 v1, s58, v0
	v_add_u32_e32 v1, v0, v1
	v_lshrrev_b32_e32 v1, s59, v1
	v_mul_lo_u32 v1, v1, s51
	v_sub_u32_e32 v0, v0, v1
	v_mad_u64_u32 v[38:39], s[4:5], v0, s46, v[38:39]
	v_mad_u64_u32 v[2:3], s[4:5], v0, s47, v[2:3]
.LBB11_17:
	s_waitcnt lgkmcnt(0)
	v_mov_b32_e32 v0, s42
	v_mov_b32_e32 v1, s43
	;; [unrolled: 1-line block ×3, first 2 shown]
	s_getpc_b64 s[4:5]
	s_add_u32 s4, s4, _ZN2at6native6invokeIZZZNS0_12_GLOBAL__N_121bessel_j0_kernel_cudaERNS_18TensorIteratorBaseEENKUlvE_clEvENKUlvE_clEvEUldE_j15function_traitsIS7_EEENT1_11result_typeERKT_PrKPcPKT0_PKN3c1010ScalarTypeEi@rel32@lo+4
	s_addc_u32 s5, s5, _ZN2at6native6invokeIZZZNS0_12_GLOBAL__N_121bessel_j0_kernel_cudaERNS_18TensorIteratorBaseEENKUlvE_clEvENKUlvE_clEvEUldE_j15function_traitsIS7_EEENT1_11result_typeERKT_PrKPcPKT0_PKN3c1010ScalarTypeEi@rel32@hi+12
	s_swappc_b64 s[30:31], s[4:5]
	v_mov_b32_e32 v2, s41
	v_add_co_u32_e32 v4, vcc, s40, v38
	v_addc_co_u32_e32 v5, vcc, 0, v2, vcc
	v_mov_b32_e32 v2, 11
	v_cmp_lt_i16_sdwa s[4:5], v41, v2 src0_sel:BYTE_0 src1_sel:DWORD
	s_and_b64 vcc, exec, s[4:5]
	s_cbranch_vccnz .LBB11_24
; %bb.18:
	v_mov_b32_e32 v2, 25
	v_cmp_gt_i16_sdwa s[4:5], v41, v2 src0_sel:BYTE_0 src1_sel:DWORD
	s_and_b64 vcc, exec, s[4:5]
	s_cbranch_vccz .LBB11_27
; %bb.19:
	v_mov_b32_e32 v2, 28
	v_cmp_gt_i16_sdwa s[4:5], v41, v2 src0_sel:BYTE_0 src1_sel:DWORD
	s_and_b64 vcc, exec, s[4:5]
	s_cbranch_vccz .LBB11_28
	;; [unrolled: 5-line block ×4, first 2 shown]
; %bb.22:
	v_mov_b32_e32 v2, 46
	v_cmp_eq_u16_sdwa s[6:7], v41, v2 src0_sel:BYTE_0 src1_sel:DWORD
	s_mov_b64 s[8:9], 0
	s_mov_b64 s[4:5], -1
	s_and_b64 vcc, exec, s[6:7]
	s_mov_b64 s[6:7], 0
	s_cbranch_vccz .LBB11_31
; %bb.23:
	v_cvt_f32_f64_e32 v2, v[0:1]
	v_bfe_u32 v3, v2, 16, 1
	s_movk_i32 s4, 0x7fff
	v_add3_u32 v3, v2, v3, s4
	v_lshrrev_b32_e32 v3, 16, v3
	v_mov_b32_e32 v6, 0x7fc0
	v_cmp_o_f32_e32 vcc, v2, v2
	v_cndmask_b32_e32 v2, v6, v3, vcc
	global_store_dword v[4:5], v2, off
	s_mov_b64 s[6:7], -1
	s_mov_b64 s[4:5], 0
	s_branch .LBB11_31
.LBB11_24:
	s_mov_b64 s[4:5], 0
	s_mov_b64 s[6:7], 0
	s_cbranch_execnz .LBB11_99
.LBB11_25:
	s_andn2_b64 vcc, exec, s[6:7]
	s_cbranch_vccnz .LBB11_137
.LBB11_26:
	v_add_u32_e32 v40, 0x80, v40
	s_mov_b64 s[6:7], -1
	s_branch .LBB11_138
.LBB11_27:
	s_mov_b64 s[4:5], 0
	s_mov_b64 s[6:7], 0
	s_cbranch_execnz .LBB11_58
	s_branch .LBB11_98
.LBB11_28:
	s_mov_b64 s[8:9], -1
	s_mov_b64 s[4:5], 0
	s_mov_b64 s[6:7], 0
	s_branch .LBB11_41
.LBB11_29:
	s_mov_b64 s[8:9], -1
	s_mov_b64 s[4:5], 0
	s_mov_b64 s[6:7], 0
	s_branch .LBB11_37
.LBB11_30:
	s_mov_b64 s[8:9], -1
	s_mov_b64 s[4:5], 0
	s_mov_b64 s[6:7], 0
.LBB11_31:
	s_and_b64 vcc, exec, s[8:9]
	s_cbranch_vccz .LBB11_36
; %bb.32:
	v_mov_b32_e32 v2, 44
	v_cmp_eq_u16_sdwa s[8:9], v41, v2 src0_sel:BYTE_0 src1_sel:DWORD
	s_mov_b64 s[4:5], -1
	s_and_b64 vcc, exec, s[8:9]
	s_cbranch_vccz .LBB11_36
; %bb.33:
	v_cvt_f32_f64_e32 v2, v[0:1]
	v_bfe_u32 v3, v2, 23, 8
	s_movk_i32 s4, 0xff
	v_cmp_ne_u32_e32 vcc, s4, v3
	v_mov_b32_e32 v6, 0xff
	s_and_saveexec_b64 s[6:7], vcc
; %bb.34:
	s_mov_b32 s4, 0x3fffff
	v_lshrrev_b32_e32 v6, 23, v2
	v_and_b32_e32 v7, 0x400000, v2
	v_and_or_b32 v2, v2, s4, v3
	v_cmp_ne_u32_e32 vcc, 0, v7
	v_cmp_ne_u32_e64 s[4:5], 0, v2
	s_and_b64 s[4:5], vcc, s[4:5]
	v_cndmask_b32_e64 v2, 0, 1, s[4:5]
	v_add_u32_e32 v6, v6, v2
; %bb.35:
	s_or_b64 exec, exec, s[6:7]
	s_mov_b64 s[6:7], -1
	s_mov_b64 s[4:5], 0
	global_store_byte v[4:5], v6, off
.LBB11_36:
	s_mov_b64 s[8:9], 0
.LBB11_37:
	s_and_b64 vcc, exec, s[8:9]
	s_cbranch_vccz .LBB11_40
; %bb.38:
	v_mov_b32_e32 v2, 29
	v_cmp_eq_u16_sdwa s[8:9], v41, v2 src0_sel:BYTE_0 src1_sel:DWORD
	s_mov_b64 s[4:5], -1
	s_and_b64 vcc, exec, s[8:9]
	s_cbranch_vccz .LBB11_40
; %bb.39:
	v_trunc_f64_e32 v[2:3], v[0:1]
	s_movk_i32 s4, 0xffe0
	v_ldexp_f64 v[6:7], v[2:3], s4
	v_floor_f64_e32 v[6:7], v[6:7]
	v_fmac_f64_e32 v[2:3], 0xc1f00000, v[6:7]
	v_cvt_u32_f64_e32 v9, v[6:7]
	v_cvt_u32_f64_e32 v8, v[2:3]
	global_store_dwordx2 v[4:5], v[8:9], off
	s_mov_b64 s[6:7], -1
	s_mov_b64 s[4:5], 0
.LBB11_40:
	s_mov_b64 s[8:9], 0
.LBB11_41:
	s_and_b64 vcc, exec, s[8:9]
	s_cbranch_vccz .LBB11_57
; %bb.42:
	v_mov_b32_e32 v2, 27
	v_cmp_lt_i16_sdwa s[8:9], v41, v2 src0_sel:BYTE_0 src1_sel:DWORD
	s_mov_b64 s[6:7], -1
	s_and_b64 vcc, exec, s[8:9]
	s_cbranch_vccnz .LBB11_48
; %bb.43:
	v_cmp_gt_i16_sdwa s[8:9], v41, v2 src0_sel:BYTE_0 src1_sel:DWORD
	s_and_b64 vcc, exec, s[8:9]
	s_cbranch_vccz .LBB11_45
; %bb.44:
	v_cvt_u32_f64_e32 v2, v[0:1]
	s_mov_b64 s[6:7], 0
	global_store_dword v[4:5], v2, off
.LBB11_45:
	s_andn2_b64 vcc, exec, s[6:7]
	s_cbranch_vccnz .LBB11_47
; %bb.46:
	v_cvt_u32_f64_e32 v2, v[0:1]
	global_store_short v[4:5], v2, off
.LBB11_47:
	s_mov_b64 s[6:7], 0
.LBB11_48:
	s_andn2_b64 vcc, exec, s[6:7]
	s_cbranch_vccnz .LBB11_56
; %bb.49:
	v_cvt_f32_f64_e32 v2, v[0:1]
	v_and_b32_e32 v3, 0x7fffffff, v2
	s_mov_b32 s6, 0x43800000
	v_cmp_gt_u32_e32 vcc, s6, v3
	v_mov_b32_e32 v6, 0x80
	s_and_saveexec_b64 s[6:7], vcc
	s_cbranch_execz .LBB11_55
; %bb.50:
	s_mov_b32 s8, 0x3bffffff
	v_cmp_lt_u32_e32 vcc, s8, v3
	s_mov_b64 s[8:9], 0
                                        ; implicit-def: $vgpr3
	s_and_saveexec_b64 s[10:11], vcc
	s_xor_b64 s[10:11], exec, s[10:11]
	s_cbranch_execz .LBB11_171
; %bb.51:
	v_bfe_u32 v3, v2, 20, 1
	s_mov_b32 s12, 0x487ffff
	v_add3_u32 v3, v2, v3, s12
	s_mov_b64 s[8:9], exec
	v_lshrrev_b32_e32 v3, 20, v3
	s_or_saveexec_b64 s[10:11], s[10:11]
                                        ; implicit-def: $sgpr12
	s_xor_b64 exec, exec, s[10:11]
	s_cbranch_execnz .LBB11_172
.LBB11_52:
	s_or_b64 exec, exec, s[10:11]
	v_mov_b32_e32 v6, s12
	s_and_saveexec_b64 s[10:11], s[8:9]
.LBB11_53:
	v_lshrrev_b32_e32 v2, 24, v2
	s_movk_i32 s8, 0x80
	v_and_or_b32 v6, v2, s8, v3
.LBB11_54:
	s_or_b64 exec, exec, s[10:11]
.LBB11_55:
	s_or_b64 exec, exec, s[6:7]
	global_store_byte v[4:5], v6, off
.LBB11_56:
	s_mov_b64 s[6:7], -1
.LBB11_57:
	s_branch .LBB11_98
.LBB11_58:
	v_mov_b32_e32 v2, 22
	v_cmp_gt_i16_sdwa s[10:11], v41, v2 src0_sel:BYTE_0 src1_sel:DWORD
	s_mov_b64 s[8:9], -1
	s_and_b64 vcc, exec, s[10:11]
	s_cbranch_vccz .LBB11_90
; %bb.59:
	v_mov_b32_e32 v2, 24
	v_cmp_lt_i16_sdwa s[8:9], v41, v2 src0_sel:BYTE_0 src1_sel:DWORD
	s_mov_b64 s[6:7], -1
	s_and_b64 vcc, exec, s[8:9]
	s_cbranch_vccnz .LBB11_79
; %bb.60:
	v_cmp_gt_i16_sdwa s[8:9], v41, v2 src0_sel:BYTE_0 src1_sel:DWORD
	s_and_b64 vcc, exec, s[8:9]
	s_cbranch_vccz .LBB11_68
; %bb.61:
	v_cvt_f32_f64_e32 v2, v[0:1]
	v_and_b32_e32 v3, 0x7fffffff, v2
	s_mov_b32 s6, 0x47800000
	v_cmp_gt_u32_e32 vcc, s6, v3
	v_mov_b32_e32 v6, 0x80
	s_and_saveexec_b64 s[6:7], vcc
	s_cbranch_execz .LBB11_67
; %bb.62:
	s_mov_b32 s8, 0x37ffffff
	v_cmp_lt_u32_e32 vcc, s8, v3
	s_mov_b64 s[8:9], 0
                                        ; implicit-def: $vgpr3
	s_and_saveexec_b64 s[10:11], vcc
	s_xor_b64 s[10:11], exec, s[10:11]
	s_cbranch_execz .LBB11_174
; %bb.63:
	v_bfe_u32 v3, v2, 21, 1
	s_mov_b32 s12, 0x88fffff
	v_add3_u32 v3, v2, v3, s12
	s_mov_b64 s[8:9], exec
	v_lshrrev_b32_e32 v3, 21, v3
	s_or_saveexec_b64 s[10:11], s[10:11]
                                        ; implicit-def: $sgpr12
	s_xor_b64 exec, exec, s[10:11]
	s_cbranch_execnz .LBB11_175
.LBB11_64:
	s_or_b64 exec, exec, s[10:11]
	v_mov_b32_e32 v6, s12
	s_and_saveexec_b64 s[10:11], s[8:9]
.LBB11_65:
	v_lshrrev_b32_e32 v2, 24, v2
	s_movk_i32 s8, 0x80
	v_and_or_b32 v6, v2, s8, v3
.LBB11_66:
	s_or_b64 exec, exec, s[10:11]
.LBB11_67:
	s_or_b64 exec, exec, s[6:7]
	s_mov_b64 s[6:7], 0
	global_store_byte v[4:5], v6, off
.LBB11_68:
	s_and_b64 vcc, exec, s[6:7]
	s_cbranch_vccz .LBB11_78
; %bb.69:
	v_cvt_f32_f64_e32 v2, v[0:1]
	v_and_b32_e32 v6, 0x7fffffff, v2
	s_mov_b32 s6, 0x43f00000
	v_cmp_gt_u32_e32 vcc, s6, v6
                                        ; implicit-def: $vgpr3
	s_and_saveexec_b64 s[6:7], vcc
	s_xor_b64 s[6:7], exec, s[6:7]
	s_cbranch_execz .LBB11_75
; %bb.70:
	s_mov_b32 s8, 0x3c7fffff
	v_cmp_lt_u32_e32 vcc, s8, v6
                                        ; implicit-def: $vgpr3
	s_and_saveexec_b64 s[8:9], vcc
	s_xor_b64 s[8:9], exec, s[8:9]
; %bb.71:
	v_bfe_u32 v3, v2, 20, 1
	s_mov_b32 s10, 0x407ffff
	v_add3_u32 v3, v2, v3, s10
	v_lshrrev_b32_e32 v6, 20, v3
	v_and_b32_e32 v3, 0xff00000, v3
	s_mov_b32 s10, 0x7f00000
	v_mov_b32_e32 v7, 0x7e
	v_cmp_ne_u32_e32 vcc, s10, v3
	v_cndmask_b32_e32 v3, v7, v6, vcc
; %bb.72:
	s_andn2_saveexec_b64 s[8:9], s[8:9]
; %bb.73:
	s_mov_b32 s10, 0x46800000
	v_add_f32_e64 v3, |v2|, s10
; %bb.74:
	s_or_b64 exec, exec, s[8:9]
                                        ; implicit-def: $vgpr6
.LBB11_75:
	s_andn2_saveexec_b64 s[6:7], s[6:7]
; %bb.76:
	s_mov_b32 s8, 0x7f800000
	v_mov_b32_e32 v3, 0x7e
	v_mov_b32_e32 v7, 0x7f
	v_cmp_lt_u32_e32 vcc, s8, v6
	v_cndmask_b32_e32 v3, v3, v7, vcc
; %bb.77:
	s_or_b64 exec, exec, s[6:7]
	v_lshrrev_b32_e32 v2, 24, v2
	s_movk_i32 s6, 0x80
	v_and_or_b32 v2, v2, s6, v3
	global_store_byte v[4:5], v2, off
.LBB11_78:
	s_mov_b64 s[6:7], 0
.LBB11_79:
	s_andn2_b64 vcc, exec, s[6:7]
	s_cbranch_vccnz .LBB11_89
; %bb.80:
	v_cvt_f32_f64_e32 v2, v[0:1]
	v_and_b32_e32 v6, 0x7fffffff, v2
	s_mov_b32 s6, 0x47800000
	v_cmp_gt_u32_e32 vcc, s6, v6
                                        ; implicit-def: $vgpr3
	s_and_saveexec_b64 s[6:7], vcc
	s_xor_b64 s[6:7], exec, s[6:7]
	s_cbranch_execz .LBB11_86
; %bb.81:
	s_mov_b32 s8, 0x387fffff
	v_cmp_lt_u32_e32 vcc, s8, v6
                                        ; implicit-def: $vgpr3
	s_and_saveexec_b64 s[8:9], vcc
	s_xor_b64 s[8:9], exec, s[8:9]
; %bb.82:
	v_bfe_u32 v3, v2, 21, 1
	s_mov_b32 s10, 0x80fffff
	v_add3_u32 v3, v2, v3, s10
	v_lshrrev_b32_e32 v3, 21, v3
; %bb.83:
	s_andn2_saveexec_b64 s[8:9], s[8:9]
; %bb.84:
	s_mov_b32 s10, 0x43000000
	v_add_f32_e64 v3, |v2|, s10
; %bb.85:
	s_or_b64 exec, exec, s[8:9]
                                        ; implicit-def: $vgpr6
.LBB11_86:
	s_andn2_saveexec_b64 s[6:7], s[6:7]
; %bb.87:
	s_mov_b32 s8, 0x7f800000
	v_mov_b32_e32 v3, 0x7c
	v_mov_b32_e32 v7, 0x7f
	v_cmp_lt_u32_e32 vcc, s8, v6
	v_cndmask_b32_e32 v3, v3, v7, vcc
; %bb.88:
	s_or_b64 exec, exec, s[6:7]
	v_lshrrev_b32_e32 v2, 24, v2
	s_movk_i32 s6, 0x80
	v_and_or_b32 v2, v2, s6, v3
	global_store_byte v[4:5], v2, off
.LBB11_89:
	s_mov_b64 s[8:9], 0
	s_mov_b64 s[6:7], -1
.LBB11_90:
	s_andn2_b64 vcc, exec, s[8:9]
	s_cbranch_vccnz .LBB11_98
; %bb.91:
	v_mov_b32_e32 v2, 14
	v_cmp_gt_i16_sdwa s[10:11], v41, v2 src0_sel:BYTE_0 src1_sel:DWORD
	s_mov_b64 s[8:9], -1
	s_and_b64 vcc, exec, s[10:11]
	s_cbranch_vccz .LBB11_95
; %bb.92:
	v_mov_b32_e32 v2, 15
	v_cmp_eq_u16_sdwa s[8:9], v41, v2 src0_sel:BYTE_0 src1_sel:DWORD
	s_mov_b64 s[4:5], -1
	s_and_b64 vcc, exec, s[8:9]
	s_cbranch_vccz .LBB11_94
; %bb.93:
	v_cvt_f32_f64_e32 v2, v[0:1]
	v_bfe_u32 v3, v2, 16, 1
	s_movk_i32 s4, 0x7fff
	v_add3_u32 v3, v2, v3, s4
	v_lshrrev_b32_e32 v3, 16, v3
	v_mov_b32_e32 v6, 0x7fc0
	v_cmp_o_f32_e32 vcc, v2, v2
	v_cndmask_b32_e32 v2, v6, v3, vcc
	global_store_short v[4:5], v2, off
	s_mov_b64 s[6:7], -1
	s_mov_b64 s[4:5], 0
.LBB11_94:
	s_mov_b64 s[8:9], 0
.LBB11_95:
	s_and_b64 vcc, exec, s[8:9]
	s_cbranch_vccz .LBB11_98
; %bb.96:
	v_mov_b32_e32 v2, 11
	v_cmp_eq_u16_sdwa s[8:9], v41, v2 src0_sel:BYTE_0 src1_sel:DWORD
	s_mov_b64 s[4:5], -1
	s_and_b64 vcc, exec, s[8:9]
	s_cbranch_vccz .LBB11_98
; %bb.97:
	v_cmp_neq_f64_e32 vcc, 0, v[0:1]
	s_mov_b64 s[4:5], 0
	v_cndmask_b32_e64 v2, 0, 1, vcc
	s_mov_b64 s[6:7], -1
	global_store_byte v[4:5], v2, off
.LBB11_98:
	s_branch .LBB11_25
.LBB11_99:
	v_mov_b32_e32 v2, 5
	v_cmp_lt_i16_sdwa s[8:9], v41, v2 src0_sel:BYTE_0 src1_sel:DWORD
	s_mov_b64 s[6:7], -1
	s_and_b64 vcc, exec, s[8:9]
	s_cbranch_vccnz .LBB11_120
; %bb.100:
	v_mov_b32_e32 v2, 8
	v_cmp_lt_i16_sdwa s[8:9], v41, v2 src0_sel:BYTE_0 src1_sel:DWORD
	s_and_b64 vcc, exec, s[8:9]
	s_cbranch_vccnz .LBB11_110
; %bb.101:
	v_mov_b32_e32 v2, 9
	v_cmp_lt_i16_sdwa s[8:9], v41, v2 src0_sel:BYTE_0 src1_sel:DWORD
	s_and_b64 vcc, exec, s[8:9]
	s_cbranch_vccnz .LBB11_107
; %bb.102:
	v_cmp_gt_i16_sdwa s[8:9], v41, v2 src0_sel:BYTE_0 src1_sel:DWORD
	s_and_b64 vcc, exec, s[8:9]
	s_cbranch_vccz .LBB11_104
; %bb.103:
	v_mov_b32_e32 v2, 0
	v_mov_b32_e32 v3, v2
	global_store_dwordx4 v[4:5], v[0:3], off
	s_mov_b64 s[6:7], 0
.LBB11_104:
	s_andn2_b64 vcc, exec, s[6:7]
	s_cbranch_vccnz .LBB11_106
; %bb.105:
	v_cvt_f32_f64_e32 v2, v[0:1]
	v_mov_b32_e32 v3, 0
	global_store_dwordx2 v[4:5], v[2:3], off
.LBB11_106:
	s_mov_b64 s[6:7], 0
.LBB11_107:
	s_andn2_b64 vcc, exec, s[6:7]
	s_cbranch_vccnz .LBB11_109
; %bb.108:
	v_cvt_f32_f64_e32 v2, v[0:1]
	v_cvt_f16_f32_e32 v2, v2
	global_store_dword v[4:5], v2, off
.LBB11_109:
	s_mov_b64 s[6:7], 0
.LBB11_110:
	s_andn2_b64 vcc, exec, s[6:7]
	s_cbranch_vccnz .LBB11_119
; %bb.111:
	v_mov_b32_e32 v2, 6
	v_cmp_lt_i16_sdwa s[8:9], v41, v2 src0_sel:BYTE_0 src1_sel:DWORD
	s_mov_b64 s[6:7], -1
	s_and_b64 vcc, exec, s[8:9]
	s_cbranch_vccnz .LBB11_117
; %bb.112:
	v_cmp_gt_i16_sdwa s[8:9], v41, v2 src0_sel:BYTE_0 src1_sel:DWORD
	s_and_b64 vcc, exec, s[8:9]
	s_cbranch_vccz .LBB11_114
; %bb.113:
	global_store_dwordx2 v[4:5], v[0:1], off
	s_mov_b64 s[6:7], 0
.LBB11_114:
	s_andn2_b64 vcc, exec, s[6:7]
	s_cbranch_vccnz .LBB11_116
; %bb.115:
	v_cvt_f32_f64_e32 v2, v[0:1]
	global_store_dword v[4:5], v2, off
.LBB11_116:
	s_mov_b64 s[6:7], 0
.LBB11_117:
	s_andn2_b64 vcc, exec, s[6:7]
	s_cbranch_vccnz .LBB11_119
; %bb.118:
	v_cvt_f32_f64_e32 v2, v[0:1]
	v_cvt_f16_f32_e32 v2, v2
	global_store_short v[4:5], v2, off
.LBB11_119:
	s_mov_b64 s[6:7], 0
.LBB11_120:
	s_andn2_b64 vcc, exec, s[6:7]
	s_cbranch_vccnz .LBB11_136
; %bb.121:
	v_mov_b32_e32 v2, 2
	v_cmp_lt_i16_sdwa s[8:9], v41, v2 src0_sel:BYTE_0 src1_sel:DWORD
	s_mov_b64 s[6:7], -1
	s_and_b64 vcc, exec, s[8:9]
	s_cbranch_vccnz .LBB11_131
; %bb.122:
	v_mov_b32_e32 v2, 3
	v_cmp_lt_i16_sdwa s[8:9], v41, v2 src0_sel:BYTE_0 src1_sel:DWORD
	s_and_b64 vcc, exec, s[8:9]
	s_cbranch_vccnz .LBB11_128
; %bb.123:
	v_cmp_gt_i16_sdwa s[8:9], v41, v2 src0_sel:BYTE_0 src1_sel:DWORD
	s_and_b64 vcc, exec, s[8:9]
	s_cbranch_vccz .LBB11_125
; %bb.124:
	v_trunc_f64_e32 v[2:3], v[0:1]
	s_movk_i32 s6, 0xffe0
	v_ldexp_f64 v[6:7], v[2:3], s6
	v_floor_f64_e32 v[6:7], v[6:7]
	v_fmac_f64_e32 v[2:3], 0xc1f00000, v[6:7]
	v_cvt_i32_f64_e32 v9, v[6:7]
	v_cvt_u32_f64_e32 v8, v[2:3]
	global_store_dwordx2 v[4:5], v[8:9], off
	s_mov_b64 s[6:7], 0
.LBB11_125:
	s_andn2_b64 vcc, exec, s[6:7]
	s_cbranch_vccnz .LBB11_127
; %bb.126:
	v_cvt_i32_f64_e32 v2, v[0:1]
	global_store_dword v[4:5], v2, off
.LBB11_127:
	s_mov_b64 s[6:7], 0
.LBB11_128:
	s_andn2_b64 vcc, exec, s[6:7]
	s_cbranch_vccnz .LBB11_130
; %bb.129:
	v_cvt_i32_f64_e32 v2, v[0:1]
	global_store_short v[4:5], v2, off
.LBB11_130:
	s_mov_b64 s[6:7], 0
.LBB11_131:
	s_andn2_b64 vcc, exec, s[6:7]
	s_cbranch_vccnz .LBB11_136
; %bb.132:
	v_mov_b32_e32 v2, 0
	v_cmp_gt_i16_sdwa s[8:9], v41, v2 src0_sel:BYTE_0 src1_sel:DWORD
	s_mov_b64 s[6:7], -1
	s_and_b64 vcc, exec, s[8:9]
	s_cbranch_vccz .LBB11_134
; %bb.133:
	v_cvt_i32_f64_e32 v2, v[0:1]
	global_store_byte v[4:5], v2, off
	s_mov_b64 s[6:7], 0
.LBB11_134:
	s_andn2_b64 vcc, exec, s[6:7]
	s_cbranch_vccnz .LBB11_136
; %bb.135:
	v_trunc_f64_e32 v[0:1], v[0:1]
	s_movk_i32 s6, 0xffe0
	v_ldexp_f64 v[2:3], v[0:1], s6
	v_floor_f64_e32 v[2:3], v[2:3]
	v_fmac_f64_e32 v[0:1], 0xc1f00000, v[2:3]
	v_cvt_u32_f64_e32 v0, v[0:1]
	global_store_byte v[4:5], v0, off
.LBB11_136:
	s_branch .LBB11_26
.LBB11_137:
	s_mov_b64 s[6:7], 0
                                        ; implicit-def: $vgpr40
.LBB11_138:
	s_and_b64 s[66:67], s[4:5], exec
	s_orn2_b64 s[4:5], s[6:7], exec
.LBB11_139:
	s_or_b64 exec, exec, s[68:69]
	s_mov_b64 s[6:7], 0
                                        ; implicit-def: $vgpr6
                                        ; implicit-def: $vgpr4_vgpr5
                                        ; implicit-def: $vgpr0_vgpr1
	s_and_saveexec_b64 s[68:69], s[4:5]
	s_cbranch_execz .LBB11_147
; %bb.140:
	v_cmp_gt_i32_e32 vcc, s78, v40
	s_mov_b64 s[8:9], -1
	s_mov_b64 s[70:71], s[66:67]
	s_and_saveexec_b64 s[72:73], vcc
	s_cbranch_execz .LBB11_286
; %bb.141:
	s_andn2_b64 vcc, exec, s[54:55]
	s_cbranch_vccnz .LBB11_150
; %bb.142:
	s_mov_b32 s24, 0
	s_andn2_b64 vcc, exec, s[64:65]
	v_mov_b32_e32 v2, 0
	v_mov_b32_e32 v38, 0
	s_cbranch_vccnz .LBB11_156
; %bb.143:
	s_add_i32 s30, s81, 1
	s_cmp_eq_u32 s80, 2
	s_cbranch_scc1 .LBB11_151
; %bb.144:
	s_and_b32 s24, s30, 28
	s_mov_b32 s25, 0
	v_mov_b32_e32 v38, 0
	s_mov_b64 s[26:27], s[38:39]
	s_mov_b64 s[28:29], s[62:63]
	v_mov_b32_e32 v0, v40
	v_mov_b32_e32 v2, 0
.LBB11_145:                             ; =>This Inner Loop Header: Depth=1
	s_load_dwordx8 s[12:19], s[26:27], 0x4
	s_load_dwordx4 s[20:23], s[26:27], 0x24
	s_load_dwordx8 s[4:11], s[28:29], 0x0
	s_add_u32 s26, s26, 48
	s_addc_u32 s27, s27, 0
	s_waitcnt lgkmcnt(0)
	v_mul_hi_u32 v1, s13, v0
	v_add_u32_e32 v1, v0, v1
	v_lshrrev_b32_e32 v1, s14, v1
	v_mul_lo_u32 v3, v1, s12
	v_mul_hi_u32 v4, s16, v1
	v_sub_u32_e32 v0, v0, v3
	v_add_u32_e32 v3, v1, v4
	v_lshrrev_b32_e32 v3, s17, v3
	v_mul_lo_u32 v5, v3, s15
	v_mul_hi_u32 v6, s19, v3
	v_sub_u32_e32 v1, v1, v5
	v_add_u32_e32 v5, v3, v6
	v_mul_lo_u32 v4, v0, s5
	v_mul_lo_u32 v0, v0, s4
	;; [unrolled: 1-line block ×4, first 2 shown]
	v_lshrrev_b32_e32 v5, s20, v5
	v_add3_u32 v1, v0, v38, v1
	v_add3_u32 v2, v4, v2, v6
	v_mul_lo_u32 v0, v5, s18
	v_mul_hi_u32 v4, s22, v5
	v_sub_u32_e32 v0, v3, v0
	v_add_u32_e32 v3, v5, v4
	v_mul_lo_u32 v4, v0, s8
	v_mul_lo_u32 v6, v0, s9
	v_lshrrev_b32_e32 v0, s23, v3
	s_add_i32 s25, s25, 4
	v_mul_lo_u32 v3, v0, s21
	s_add_u32 s28, s28, 32
	v_sub_u32_e32 v3, v5, v3
	s_addc_u32 s29, s29, 0
	v_mul_lo_u32 v5, v3, s10
	v_mul_lo_u32 v3, v3, s11
	s_cmp_eq_u32 s24, s25
	v_add3_u32 v2, v6, v2, v3
	v_add3_u32 v38, v4, v1, v5
	s_cbranch_scc0 .LBB11_145
; %bb.146:
	v_mov_b32_e32 v39, v2
	s_branch .LBB11_152
.LBB11_147:
	s_or_b64 exec, exec, s[68:69]
	s_mov_b64 s[4:5], 0
	s_and_saveexec_b64 s[8:9], s[66:67]
	s_cbranch_execnz .LBB11_530
.LBB11_148:
	s_or_b64 exec, exec, s[8:9]
	s_and_saveexec_b64 s[8:9], s[72:73]
	s_xor_b64 s[8:9], exec, s[8:9]
	s_cbranch_execz .LBB11_531
.LBB11_149:
	v_cmp_neq_f64_e32 vcc, 0, v[0:1]
	v_cndmask_b32_e64 v2, 0, 1, vcc
	global_store_byte v[4:5], v2, off
	s_or_b64 exec, exec, s[8:9]
	s_and_saveexec_b64 s[8:9], s[6:7]
	s_xor_b64 s[6:7], exec, s[8:9]
	s_cbranch_execz .LBB11_569
	s_branch .LBB11_532
.LBB11_150:
                                        ; implicit-def: $vgpr2
                                        ; implicit-def: $vgpr38
	s_branch .LBB11_157
.LBB11_151:
	s_mov_b32 s25, s24
	v_pk_mov_b32 v[38:39], s[24:25], s[24:25] op_sel:[0,1]
                                        ; implicit-def: $vgpr2
	v_mov_b32_e32 v0, v40
.LBB11_152:
	s_and_b32 s8, s30, 3
	s_cmp_eq_u32 s8, 0
	s_cbranch_scc1 .LBB11_156
; %bb.153:
	s_lshl_b32 s4, s24, 3
	s_add_u32 s4, s4, s38
	s_addc_u32 s5, s39, 0
	s_add_u32 s4, s4, 0xc4
	s_addc_u32 s5, s5, 0
	s_mul_i32 s6, s24, 12
	s_add_u32 s6, s38, s6
	s_addc_u32 s7, s39, 0
.LBB11_154:                             ; =>This Inner Loop Header: Depth=1
	s_load_dwordx2 s[10:11], s[6:7], 0x4
	s_load_dword s9, s[6:7], 0xc
	s_load_dwordx2 s[12:13], s[4:5], 0x0
	s_add_u32 s6, s6, 12
	s_addc_u32 s7, s7, 0
	s_waitcnt lgkmcnt(0)
	v_mul_hi_u32 v1, s11, v0
	v_add_u32_e32 v1, v0, v1
	v_lshrrev_b32_e32 v1, s9, v1
	v_mul_lo_u32 v3, v1, s10
	v_mov_b32_e32 v2, v39
	s_add_u32 s4, s4, 8
	v_sub_u32_e32 v4, v0, v3
	s_addc_u32 s5, s5, 0
	s_add_i32 s8, s8, -1
	v_mad_u64_u32 v[2:3], s[10:11], v4, s13, v[2:3]
	v_mad_u64_u32 v[38:39], s[10:11], v4, s12, v[38:39]
	s_cmp_lg_u32 s8, 0
	v_mov_b32_e32 v0, v1
	v_mov_b32_e32 v39, v2
	s_cbranch_scc1 .LBB11_154
; %bb.155:
	v_mov_b32_e32 v2, v39
.LBB11_156:
	s_cbranch_execnz .LBB11_159
.LBB11_157:
	s_waitcnt lgkmcnt(0)
	v_mul_hi_u32 v0, s49, v40
	v_add_u32_e32 v0, v40, v0
	v_lshrrev_b32_e32 v0, s50, v0
	v_mul_lo_u32 v1, v0, s48
	v_sub_u32_e32 v1, v40, v1
	v_mul_lo_u32 v2, v1, s45
	s_andn2_b64 vcc, exec, s[60:61]
	v_mul_lo_u32 v38, v1, s44
	s_cbranch_vccnz .LBB11_159
; %bb.158:
	v_mul_hi_u32 v1, s58, v0
	v_add_u32_e32 v1, v0, v1
	v_lshrrev_b32_e32 v1, s59, v1
	v_mul_lo_u32 v1, v1, s51
	v_sub_u32_e32 v0, v0, v1
	v_mad_u64_u32 v[38:39], s[4:5], v0, s46, v[38:39]
	v_mad_u64_u32 v[2:3], s[4:5], v0, s47, v[2:3]
.LBB11_159:
	s_waitcnt lgkmcnt(0)
	v_mov_b32_e32 v0, s42
	v_mov_b32_e32 v1, s43
	;; [unrolled: 1-line block ×3, first 2 shown]
	s_getpc_b64 s[4:5]
	s_add_u32 s4, s4, _ZN2at6native6invokeIZZZNS0_12_GLOBAL__N_121bessel_j0_kernel_cudaERNS_18TensorIteratorBaseEENKUlvE_clEvENKUlvE_clEvEUldE_j15function_traitsIS7_EEENT1_11result_typeERKT_PrKPcPKT0_PKN3c1010ScalarTypeEi@rel32@lo+4
	s_addc_u32 s5, s5, _ZN2at6native6invokeIZZZNS0_12_GLOBAL__N_121bessel_j0_kernel_cudaERNS_18TensorIteratorBaseEENKUlvE_clEvENKUlvE_clEvEUldE_j15function_traitsIS7_EEENT1_11result_typeERKT_PrKPcPKT0_PKN3c1010ScalarTypeEi@rel32@hi+12
	s_swappc_b64 s[30:31], s[4:5]
	v_mov_b32_e32 v2, s41
	v_add_co_u32_e32 v4, vcc, s40, v38
	v_addc_co_u32_e32 v5, vcc, 0, v2, vcc
	v_mov_b32_e32 v2, 11
	v_cmp_lt_i16_sdwa s[4:5], v41, v2 src0_sel:BYTE_0 src1_sel:DWORD
	s_and_b64 vcc, exec, s[4:5]
	s_cbranch_vccnz .LBB11_166
; %bb.160:
	v_mov_b32_e32 v2, 25
	v_cmp_gt_i16_sdwa s[4:5], v41, v2 src0_sel:BYTE_0 src1_sel:DWORD
	s_and_b64 vcc, exec, s[4:5]
	s_cbranch_vccz .LBB11_169
; %bb.161:
	v_mov_b32_e32 v2, 28
	v_cmp_gt_i16_sdwa s[4:5], v41, v2 src0_sel:BYTE_0 src1_sel:DWORD
	s_and_b64 vcc, exec, s[4:5]
	s_cbranch_vccz .LBB11_170
	;; [unrolled: 5-line block ×4, first 2 shown]
; %bb.164:
	v_mov_b32_e32 v2, 46
	v_cmp_eq_u16_sdwa s[6:7], v41, v2 src0_sel:BYTE_0 src1_sel:DWORD
	s_mov_b64 s[8:9], 0
	s_mov_b64 s[4:5], -1
	s_and_b64 vcc, exec, s[6:7]
	s_mov_b64 s[6:7], 0
	s_cbranch_vccz .LBB11_177
; %bb.165:
	v_cvt_f32_f64_e32 v2, v[0:1]
	v_bfe_u32 v3, v2, 16, 1
	s_movk_i32 s4, 0x7fff
	v_add3_u32 v3, v2, v3, s4
	v_lshrrev_b32_e32 v3, 16, v3
	v_mov_b32_e32 v6, 0x7fc0
	v_cmp_o_f32_e32 vcc, v2, v2
	v_cndmask_b32_e32 v2, v6, v3, vcc
	global_store_dword v[4:5], v2, off
	s_mov_b64 s[6:7], -1
	s_mov_b64 s[4:5], 0
	s_branch .LBB11_177
.LBB11_166:
	s_mov_b64 s[6:7], 0
	s_mov_b64 s[4:5], s[66:67]
	s_cbranch_execnz .LBB11_246
.LBB11_167:
	s_andn2_b64 vcc, exec, s[6:7]
	s_cbranch_vccnz .LBB11_284
.LBB11_168:
	v_add_u32_e32 v40, 0x80, v40
	s_mov_b64 s[6:7], -1
	s_branch .LBB11_285
.LBB11_169:
	s_mov_b64 s[8:9], -1
	s_mov_b64 s[6:7], 0
	s_mov_b64 s[4:5], s[66:67]
	s_branch .LBB11_204
.LBB11_170:
	s_mov_b64 s[8:9], -1
	s_mov_b64 s[6:7], 0
	s_mov_b64 s[4:5], s[66:67]
	s_branch .LBB11_187
.LBB11_171:
	s_or_saveexec_b64 s[10:11], s[10:11]
                                        ; implicit-def: $sgpr12
	s_xor_b64 exec, exec, s[10:11]
	s_cbranch_execz .LBB11_52
.LBB11_172:
	s_mov_b32 s12, 0x46000000
	v_add_f32_e64 v3, |v2|, s12
	v_and_b32_e32 v3, 0xff, v3
	v_cmp_ne_u32_e32 vcc, 0, v3
	s_andn2_b64 s[8:9], s[8:9], exec
	s_and_b64 s[14:15], vcc, exec
	s_mov_b32 s12, 0
	s_or_b64 s[8:9], s[8:9], s[14:15]
	s_or_b64 exec, exec, s[10:11]
	v_mov_b32_e32 v6, s12
	s_and_saveexec_b64 s[10:11], s[8:9]
	s_cbranch_execnz .LBB11_53
	s_branch .LBB11_54
.LBB11_173:
	s_mov_b64 s[8:9], -1
	s_mov_b64 s[6:7], 0
	s_mov_b64 s[4:5], s[66:67]
	s_branch .LBB11_183
.LBB11_174:
	s_or_saveexec_b64 s[10:11], s[10:11]
                                        ; implicit-def: $sgpr12
	s_xor_b64 exec, exec, s[10:11]
	s_cbranch_execz .LBB11_64
.LBB11_175:
	s_mov_b32 s12, 0x42800000
	v_add_f32_e64 v3, |v2|, s12
	v_and_b32_e32 v3, 0xff, v3
	v_cmp_ne_u32_e32 vcc, 0, v3
	s_andn2_b64 s[8:9], s[8:9], exec
	s_and_b64 s[14:15], vcc, exec
	s_mov_b32 s12, 0
	s_or_b64 s[8:9], s[8:9], s[14:15]
	s_or_b64 exec, exec, s[10:11]
	v_mov_b32_e32 v6, s12
	s_and_saveexec_b64 s[10:11], s[8:9]
	s_cbranch_execnz .LBB11_65
	s_branch .LBB11_66
.LBB11_176:
	s_mov_b64 s[8:9], -1
	s_mov_b64 s[6:7], 0
	s_mov_b64 s[4:5], s[66:67]
.LBB11_177:
	s_and_b64 vcc, exec, s[8:9]
	s_cbranch_vccz .LBB11_182
; %bb.178:
	v_mov_b32_e32 v2, 44
	v_cmp_eq_u16_sdwa s[8:9], v41, v2 src0_sel:BYTE_0 src1_sel:DWORD
	s_mov_b64 s[4:5], -1
	s_and_b64 vcc, exec, s[8:9]
	s_cbranch_vccz .LBB11_182
; %bb.179:
	v_cvt_f32_f64_e32 v2, v[0:1]
	v_bfe_u32 v3, v2, 23, 8
	s_movk_i32 s4, 0xff
	v_cmp_ne_u32_e32 vcc, s4, v3
	v_mov_b32_e32 v6, 0xff
	s_and_saveexec_b64 s[6:7], vcc
; %bb.180:
	s_mov_b32 s4, 0x3fffff
	v_lshrrev_b32_e32 v6, 23, v2
	v_and_b32_e32 v7, 0x400000, v2
	v_and_or_b32 v2, v2, s4, v3
	v_cmp_ne_u32_e32 vcc, 0, v7
	v_cmp_ne_u32_e64 s[4:5], 0, v2
	s_and_b64 s[4:5], vcc, s[4:5]
	v_cndmask_b32_e64 v2, 0, 1, s[4:5]
	v_add_u32_e32 v6, v6, v2
; %bb.181:
	s_or_b64 exec, exec, s[6:7]
	s_mov_b64 s[6:7], -1
	s_mov_b64 s[4:5], 0
	global_store_byte v[4:5], v6, off
.LBB11_182:
	s_mov_b64 s[8:9], 0
.LBB11_183:
	s_and_b64 vcc, exec, s[8:9]
	s_cbranch_vccz .LBB11_186
; %bb.184:
	v_mov_b32_e32 v2, 29
	v_cmp_eq_u16_sdwa s[8:9], v41, v2 src0_sel:BYTE_0 src1_sel:DWORD
	s_mov_b64 s[4:5], -1
	s_and_b64 vcc, exec, s[8:9]
	s_cbranch_vccz .LBB11_186
; %bb.185:
	v_trunc_f64_e32 v[2:3], v[0:1]
	s_movk_i32 s4, 0xffe0
	v_ldexp_f64 v[6:7], v[2:3], s4
	v_floor_f64_e32 v[6:7], v[6:7]
	v_fmac_f64_e32 v[2:3], 0xc1f00000, v[6:7]
	v_cvt_u32_f64_e32 v9, v[6:7]
	v_cvt_u32_f64_e32 v8, v[2:3]
	global_store_dwordx2 v[4:5], v[8:9], off
	s_mov_b64 s[6:7], -1
	s_mov_b64 s[4:5], 0
.LBB11_186:
	s_mov_b64 s[8:9], 0
.LBB11_187:
	s_and_b64 vcc, exec, s[8:9]
	s_cbranch_vccz .LBB11_203
; %bb.188:
	v_mov_b32_e32 v2, 27
	v_cmp_lt_i16_sdwa s[8:9], v41, v2 src0_sel:BYTE_0 src1_sel:DWORD
	s_mov_b64 s[6:7], -1
	s_and_b64 vcc, exec, s[8:9]
	s_cbranch_vccnz .LBB11_194
; %bb.189:
	v_cmp_gt_i16_sdwa s[8:9], v41, v2 src0_sel:BYTE_0 src1_sel:DWORD
	s_and_b64 vcc, exec, s[8:9]
	v_cvt_u32_f64_e32 v2, v[0:1]
	s_cbranch_vccz .LBB11_191
; %bb.190:
	s_mov_b64 s[6:7], 0
	global_store_dword v[4:5], v2, off
.LBB11_191:
	s_andn2_b64 vcc, exec, s[6:7]
	s_cbranch_vccnz .LBB11_193
; %bb.192:
	global_store_short v[4:5], v2, off
.LBB11_193:
	s_mov_b64 s[6:7], 0
.LBB11_194:
	s_andn2_b64 vcc, exec, s[6:7]
	s_cbranch_vccnz .LBB11_202
; %bb.195:
	v_cvt_f32_f64_e32 v2, v[0:1]
	v_and_b32_e32 v3, 0x7fffffff, v2
	s_mov_b32 s6, 0x43800000
	v_cmp_gt_u32_e32 vcc, s6, v3
	v_mov_b32_e32 v6, 0x80
	s_and_saveexec_b64 s[6:7], vcc
	s_cbranch_execz .LBB11_201
; %bb.196:
	s_mov_b32 s8, 0x3bffffff
	v_cmp_lt_u32_e32 vcc, s8, v3
	s_mov_b64 s[8:9], 0
                                        ; implicit-def: $vgpr3
	s_and_saveexec_b64 s[10:11], vcc
	s_xor_b64 s[10:11], exec, s[10:11]
	s_cbranch_execz .LBB11_314
; %bb.197:
	v_bfe_u32 v3, v2, 20, 1
	s_mov_b32 s12, 0x487ffff
	v_add3_u32 v3, v2, v3, s12
	s_mov_b64 s[8:9], exec
	v_lshrrev_b32_e32 v3, 20, v3
	s_or_saveexec_b64 s[10:11], s[10:11]
                                        ; implicit-def: $sgpr12
	s_xor_b64 exec, exec, s[10:11]
	s_cbranch_execnz .LBB11_315
.LBB11_198:
	s_or_b64 exec, exec, s[10:11]
	v_mov_b32_e32 v6, s12
	s_and_saveexec_b64 s[10:11], s[8:9]
.LBB11_199:
	v_lshrrev_b32_e32 v2, 24, v2
	s_movk_i32 s8, 0x80
	v_and_or_b32 v6, v2, s8, v3
.LBB11_200:
	s_or_b64 exec, exec, s[10:11]
.LBB11_201:
	s_or_b64 exec, exec, s[6:7]
	global_store_byte v[4:5], v6, off
.LBB11_202:
	s_mov_b64 s[6:7], -1
.LBB11_203:
	s_mov_b64 s[8:9], 0
.LBB11_204:
	s_and_b64 vcc, exec, s[8:9]
	s_cbranch_vccz .LBB11_245
; %bb.205:
	v_mov_b32_e32 v2, 22
	v_cmp_gt_i16_sdwa s[10:11], v41, v2 src0_sel:BYTE_0 src1_sel:DWORD
	s_mov_b64 s[8:9], -1
	s_and_b64 vcc, exec, s[10:11]
	s_cbranch_vccz .LBB11_237
; %bb.206:
	v_mov_b32_e32 v2, 24
	v_cmp_lt_i16_sdwa s[8:9], v41, v2 src0_sel:BYTE_0 src1_sel:DWORD
	s_mov_b64 s[6:7], -1
	s_and_b64 vcc, exec, s[8:9]
	s_cbranch_vccnz .LBB11_226
; %bb.207:
	v_cmp_gt_i16_sdwa s[8:9], v41, v2 src0_sel:BYTE_0 src1_sel:DWORD
	s_and_b64 vcc, exec, s[8:9]
	s_cbranch_vccz .LBB11_215
; %bb.208:
	v_cvt_f32_f64_e32 v2, v[0:1]
	v_and_b32_e32 v3, 0x7fffffff, v2
	s_mov_b32 s6, 0x47800000
	v_cmp_gt_u32_e32 vcc, s6, v3
	v_mov_b32_e32 v6, 0x80
	s_and_saveexec_b64 s[6:7], vcc
	s_cbranch_execz .LBB11_214
; %bb.209:
	s_mov_b32 s8, 0x37ffffff
	v_cmp_lt_u32_e32 vcc, s8, v3
	s_mov_b64 s[8:9], 0
                                        ; implicit-def: $vgpr3
	s_and_saveexec_b64 s[10:11], vcc
	s_xor_b64 s[10:11], exec, s[10:11]
	s_cbranch_execz .LBB11_317
; %bb.210:
	v_bfe_u32 v3, v2, 21, 1
	s_mov_b32 s12, 0x88fffff
	v_add3_u32 v3, v2, v3, s12
	s_mov_b64 s[8:9], exec
	v_lshrrev_b32_e32 v3, 21, v3
	s_or_saveexec_b64 s[10:11], s[10:11]
                                        ; implicit-def: $sgpr12
	s_xor_b64 exec, exec, s[10:11]
	s_cbranch_execnz .LBB11_318
.LBB11_211:
	s_or_b64 exec, exec, s[10:11]
	v_mov_b32_e32 v6, s12
	s_and_saveexec_b64 s[10:11], s[8:9]
.LBB11_212:
	v_lshrrev_b32_e32 v2, 24, v2
	s_movk_i32 s8, 0x80
	v_and_or_b32 v6, v2, s8, v3
.LBB11_213:
	s_or_b64 exec, exec, s[10:11]
.LBB11_214:
	s_or_b64 exec, exec, s[6:7]
	s_mov_b64 s[6:7], 0
	global_store_byte v[4:5], v6, off
.LBB11_215:
	s_and_b64 vcc, exec, s[6:7]
	s_cbranch_vccz .LBB11_225
; %bb.216:
	v_cvt_f32_f64_e32 v2, v[0:1]
	v_and_b32_e32 v6, 0x7fffffff, v2
	s_mov_b32 s6, 0x43f00000
	v_cmp_gt_u32_e32 vcc, s6, v6
                                        ; implicit-def: $vgpr3
	s_and_saveexec_b64 s[6:7], vcc
	s_xor_b64 s[6:7], exec, s[6:7]
	s_cbranch_execz .LBB11_222
; %bb.217:
	s_mov_b32 s8, 0x3c7fffff
	v_cmp_lt_u32_e32 vcc, s8, v6
                                        ; implicit-def: $vgpr3
	s_and_saveexec_b64 s[8:9], vcc
	s_xor_b64 s[8:9], exec, s[8:9]
; %bb.218:
	v_bfe_u32 v3, v2, 20, 1
	s_mov_b32 s10, 0x407ffff
	v_add3_u32 v3, v2, v3, s10
	v_lshrrev_b32_e32 v6, 20, v3
	v_and_b32_e32 v3, 0xff00000, v3
	s_mov_b32 s10, 0x7f00000
	v_mov_b32_e32 v7, 0x7e
	v_cmp_ne_u32_e32 vcc, s10, v3
	v_cndmask_b32_e32 v3, v7, v6, vcc
; %bb.219:
	s_andn2_saveexec_b64 s[8:9], s[8:9]
; %bb.220:
	s_mov_b32 s10, 0x46800000
	v_add_f32_e64 v3, |v2|, s10
; %bb.221:
	s_or_b64 exec, exec, s[8:9]
                                        ; implicit-def: $vgpr6
.LBB11_222:
	s_andn2_saveexec_b64 s[6:7], s[6:7]
; %bb.223:
	s_mov_b32 s8, 0x7f800000
	v_mov_b32_e32 v3, 0x7e
	v_mov_b32_e32 v7, 0x7f
	v_cmp_lt_u32_e32 vcc, s8, v6
	v_cndmask_b32_e32 v3, v3, v7, vcc
; %bb.224:
	s_or_b64 exec, exec, s[6:7]
	v_lshrrev_b32_e32 v2, 24, v2
	s_movk_i32 s6, 0x80
	v_and_or_b32 v2, v2, s6, v3
	global_store_byte v[4:5], v2, off
.LBB11_225:
	s_mov_b64 s[6:7], 0
.LBB11_226:
	s_andn2_b64 vcc, exec, s[6:7]
	s_cbranch_vccnz .LBB11_236
; %bb.227:
	v_cvt_f32_f64_e32 v2, v[0:1]
	v_and_b32_e32 v6, 0x7fffffff, v2
	s_mov_b32 s6, 0x47800000
	v_cmp_gt_u32_e32 vcc, s6, v6
                                        ; implicit-def: $vgpr3
	s_and_saveexec_b64 s[6:7], vcc
	s_xor_b64 s[6:7], exec, s[6:7]
	s_cbranch_execz .LBB11_233
; %bb.228:
	s_mov_b32 s8, 0x387fffff
	v_cmp_lt_u32_e32 vcc, s8, v6
                                        ; implicit-def: $vgpr3
	s_and_saveexec_b64 s[8:9], vcc
	s_xor_b64 s[8:9], exec, s[8:9]
; %bb.229:
	v_bfe_u32 v3, v2, 21, 1
	s_mov_b32 s10, 0x80fffff
	v_add3_u32 v3, v2, v3, s10
	v_lshrrev_b32_e32 v3, 21, v3
; %bb.230:
	s_andn2_saveexec_b64 s[8:9], s[8:9]
; %bb.231:
	s_mov_b32 s10, 0x43000000
	v_add_f32_e64 v3, |v2|, s10
; %bb.232:
	s_or_b64 exec, exec, s[8:9]
                                        ; implicit-def: $vgpr6
.LBB11_233:
	s_andn2_saveexec_b64 s[6:7], s[6:7]
; %bb.234:
	s_mov_b32 s8, 0x7f800000
	v_mov_b32_e32 v3, 0x7c
	v_mov_b32_e32 v7, 0x7f
	v_cmp_lt_u32_e32 vcc, s8, v6
	v_cndmask_b32_e32 v3, v3, v7, vcc
; %bb.235:
	s_or_b64 exec, exec, s[6:7]
	v_lshrrev_b32_e32 v2, 24, v2
	s_movk_i32 s6, 0x80
	v_and_or_b32 v2, v2, s6, v3
	global_store_byte v[4:5], v2, off
.LBB11_236:
	s_mov_b64 s[8:9], 0
	s_mov_b64 s[6:7], -1
.LBB11_237:
	s_andn2_b64 vcc, exec, s[8:9]
	s_cbranch_vccnz .LBB11_245
; %bb.238:
	v_mov_b32_e32 v2, 14
	v_cmp_gt_i16_sdwa s[10:11], v41, v2 src0_sel:BYTE_0 src1_sel:DWORD
	s_mov_b64 s[8:9], -1
	s_and_b64 vcc, exec, s[10:11]
	s_cbranch_vccz .LBB11_242
; %bb.239:
	v_mov_b32_e32 v2, 15
	v_cmp_eq_u16_sdwa s[8:9], v41, v2 src0_sel:BYTE_0 src1_sel:DWORD
	s_mov_b64 s[4:5], -1
	s_and_b64 vcc, exec, s[8:9]
	s_cbranch_vccz .LBB11_241
; %bb.240:
	v_cvt_f32_f64_e32 v2, v[0:1]
	v_bfe_u32 v3, v2, 16, 1
	s_movk_i32 s4, 0x7fff
	v_add3_u32 v3, v2, v3, s4
	v_lshrrev_b32_e32 v3, 16, v3
	v_mov_b32_e32 v6, 0x7fc0
	v_cmp_o_f32_e32 vcc, v2, v2
	v_cndmask_b32_e32 v2, v6, v3, vcc
	global_store_short v[4:5], v2, off
	s_mov_b64 s[6:7], -1
	s_mov_b64 s[4:5], 0
.LBB11_241:
	s_mov_b64 s[8:9], 0
.LBB11_242:
	s_and_b64 vcc, exec, s[8:9]
	s_cbranch_vccz .LBB11_245
; %bb.243:
	v_mov_b32_e32 v2, 11
	v_cmp_eq_u16_sdwa s[8:9], v41, v2 src0_sel:BYTE_0 src1_sel:DWORD
	s_mov_b64 s[4:5], -1
	s_and_b64 vcc, exec, s[8:9]
	s_cbranch_vccz .LBB11_245
; %bb.244:
	v_cmp_neq_f64_e32 vcc, 0, v[0:1]
	s_mov_b64 s[4:5], 0
	v_cndmask_b32_e64 v2, 0, 1, vcc
	s_mov_b64 s[6:7], -1
	global_store_byte v[4:5], v2, off
.LBB11_245:
	s_branch .LBB11_167
.LBB11_246:
	v_mov_b32_e32 v2, 5
	v_cmp_lt_i16_sdwa s[8:9], v41, v2 src0_sel:BYTE_0 src1_sel:DWORD
	s_mov_b64 s[6:7], -1
	s_and_b64 vcc, exec, s[8:9]
	s_cbranch_vccnz .LBB11_267
; %bb.247:
	v_mov_b32_e32 v2, 8
	v_cmp_lt_i16_sdwa s[8:9], v41, v2 src0_sel:BYTE_0 src1_sel:DWORD
	s_and_b64 vcc, exec, s[8:9]
	s_cbranch_vccnz .LBB11_257
; %bb.248:
	v_mov_b32_e32 v2, 9
	v_cmp_lt_i16_sdwa s[8:9], v41, v2 src0_sel:BYTE_0 src1_sel:DWORD
	s_and_b64 vcc, exec, s[8:9]
	s_cbranch_vccnz .LBB11_254
; %bb.249:
	v_cmp_gt_i16_sdwa s[8:9], v41, v2 src0_sel:BYTE_0 src1_sel:DWORD
	s_and_b64 vcc, exec, s[8:9]
	s_cbranch_vccz .LBB11_251
; %bb.250:
	v_mov_b32_e32 v2, 0
	v_mov_b32_e32 v3, v2
	s_mov_b64 s[6:7], 0
	global_store_dwordx4 v[4:5], v[0:3], off
.LBB11_251:
	s_andn2_b64 vcc, exec, s[6:7]
	s_cbranch_vccnz .LBB11_253
; %bb.252:
	v_cvt_f32_f64_e32 v2, v[0:1]
	v_mov_b32_e32 v3, 0
	global_store_dwordx2 v[4:5], v[2:3], off
.LBB11_253:
	s_mov_b64 s[6:7], 0
.LBB11_254:
	s_andn2_b64 vcc, exec, s[6:7]
	s_cbranch_vccnz .LBB11_256
; %bb.255:
	v_cvt_f32_f64_e32 v2, v[0:1]
	v_cvt_f16_f32_e32 v2, v2
	global_store_dword v[4:5], v2, off
.LBB11_256:
	s_mov_b64 s[6:7], 0
.LBB11_257:
	s_andn2_b64 vcc, exec, s[6:7]
	s_cbranch_vccnz .LBB11_266
; %bb.258:
	v_mov_b32_e32 v2, 6
	v_cmp_lt_i16_sdwa s[8:9], v41, v2 src0_sel:BYTE_0 src1_sel:DWORD
	s_mov_b64 s[6:7], -1
	s_and_b64 vcc, exec, s[8:9]
	s_cbranch_vccnz .LBB11_264
; %bb.259:
	v_cmp_gt_i16_sdwa s[8:9], v41, v2 src0_sel:BYTE_0 src1_sel:DWORD
	s_and_b64 vcc, exec, s[8:9]
	s_cbranch_vccz .LBB11_261
; %bb.260:
	s_mov_b64 s[6:7], 0
	global_store_dwordx2 v[4:5], v[0:1], off
.LBB11_261:
	s_andn2_b64 vcc, exec, s[6:7]
	s_cbranch_vccnz .LBB11_263
; %bb.262:
	v_cvt_f32_f64_e32 v2, v[0:1]
	global_store_dword v[4:5], v2, off
.LBB11_263:
	s_mov_b64 s[6:7], 0
.LBB11_264:
	s_andn2_b64 vcc, exec, s[6:7]
	s_cbranch_vccnz .LBB11_266
; %bb.265:
	v_cvt_f32_f64_e32 v2, v[0:1]
	v_cvt_f16_f32_e32 v2, v2
	global_store_short v[4:5], v2, off
.LBB11_266:
	s_mov_b64 s[6:7], 0
.LBB11_267:
	s_andn2_b64 vcc, exec, s[6:7]
	s_cbranch_vccnz .LBB11_283
; %bb.268:
	v_mov_b32_e32 v2, 2
	v_cmp_lt_i16_sdwa s[8:9], v41, v2 src0_sel:BYTE_0 src1_sel:DWORD
	s_mov_b64 s[6:7], -1
	s_and_b64 vcc, exec, s[8:9]
	s_cbranch_vccnz .LBB11_278
; %bb.269:
	v_mov_b32_e32 v2, 3
	v_cmp_lt_i16_sdwa s[8:9], v41, v2 src0_sel:BYTE_0 src1_sel:DWORD
	s_and_b64 vcc, exec, s[8:9]
	s_cbranch_vccnz .LBB11_275
; %bb.270:
	v_cmp_gt_i16_sdwa s[8:9], v41, v2 src0_sel:BYTE_0 src1_sel:DWORD
	s_and_b64 vcc, exec, s[8:9]
	s_cbranch_vccz .LBB11_272
; %bb.271:
	v_trunc_f64_e32 v[2:3], v[0:1]
	s_movk_i32 s6, 0xffe0
	v_ldexp_f64 v[6:7], v[2:3], s6
	v_floor_f64_e32 v[6:7], v[6:7]
	v_fmac_f64_e32 v[2:3], 0xc1f00000, v[6:7]
	v_cvt_i32_f64_e32 v9, v[6:7]
	v_cvt_u32_f64_e32 v8, v[2:3]
	s_mov_b64 s[6:7], 0
	global_store_dwordx2 v[4:5], v[8:9], off
.LBB11_272:
	s_andn2_b64 vcc, exec, s[6:7]
	s_cbranch_vccnz .LBB11_274
; %bb.273:
	v_cvt_i32_f64_e32 v2, v[0:1]
	global_store_dword v[4:5], v2, off
.LBB11_274:
	s_mov_b64 s[6:7], 0
.LBB11_275:
	s_andn2_b64 vcc, exec, s[6:7]
	s_cbranch_vccnz .LBB11_277
; %bb.276:
	v_cvt_i32_f64_e32 v2, v[0:1]
	global_store_short v[4:5], v2, off
.LBB11_277:
	s_mov_b64 s[6:7], 0
.LBB11_278:
	s_andn2_b64 vcc, exec, s[6:7]
	s_cbranch_vccnz .LBB11_283
; %bb.279:
	v_mov_b32_e32 v2, 0
	v_cmp_gt_i16_sdwa s[8:9], v41, v2 src0_sel:BYTE_0 src1_sel:DWORD
	s_mov_b64 s[6:7], -1
	s_and_b64 vcc, exec, s[8:9]
	s_cbranch_vccz .LBB11_281
; %bb.280:
	v_cvt_i32_f64_e32 v2, v[0:1]
	s_mov_b64 s[6:7], 0
	global_store_byte v[4:5], v2, off
.LBB11_281:
	s_andn2_b64 vcc, exec, s[6:7]
	s_cbranch_vccnz .LBB11_283
; %bb.282:
	v_trunc_f64_e32 v[0:1], v[0:1]
	s_movk_i32 s6, 0xffe0
	v_ldexp_f64 v[2:3], v[0:1], s6
	v_floor_f64_e32 v[2:3], v[2:3]
	v_fmac_f64_e32 v[0:1], 0xc1f00000, v[2:3]
	v_cvt_u32_f64_e32 v0, v[0:1]
	global_store_byte v[4:5], v0, off
.LBB11_283:
	s_branch .LBB11_168
.LBB11_284:
	s_mov_b64 s[6:7], 0
                                        ; implicit-def: $vgpr40
.LBB11_285:
	s_andn2_b64 s[8:9], s[66:67], exec
	s_and_b64 s[4:5], s[4:5], exec
	s_or_b64 s[70:71], s[8:9], s[4:5]
	s_orn2_b64 s[8:9], s[6:7], exec
.LBB11_286:
	s_or_b64 exec, exec, s[72:73]
	s_mov_b64 s[4:5], 0
	s_mov_b64 s[6:7], 0
                                        ; implicit-def: $vgpr6
                                        ; implicit-def: $vgpr4_vgpr5
                                        ; implicit-def: $vgpr0_vgpr1
	s_and_saveexec_b64 s[72:73], s[8:9]
	s_cbranch_execz .LBB11_529
; %bb.287:
	v_cmp_gt_i32_e32 vcc, s78, v40
	s_mov_b64 s[6:7], -1
	s_mov_b64 s[76:77], s[70:71]
	s_and_saveexec_b64 s[74:75], vcc
	s_cbranch_execz .LBB11_432
; %bb.288:
	s_andn2_b64 vcc, exec, s[54:55]
	s_cbranch_vccnz .LBB11_294
; %bb.289:
	s_mov_b32 s24, 0
	s_andn2_b64 vcc, exec, s[64:65]
	v_mov_b32_e32 v2, 0
	v_mov_b32_e32 v38, 0
	s_cbranch_vccnz .LBB11_300
; %bb.290:
	s_add_i32 s30, s81, 1
	s_cmp_eq_u32 s80, 2
	s_cbranch_scc1 .LBB11_295
; %bb.291:
	s_and_b32 s24, s30, 28
	s_mov_b32 s25, 0
	v_mov_b32_e32 v38, 0
	s_mov_b64 s[26:27], s[38:39]
	s_mov_b64 s[28:29], s[62:63]
	v_mov_b32_e32 v0, v40
	v_mov_b32_e32 v2, 0
.LBB11_292:                             ; =>This Inner Loop Header: Depth=1
	s_load_dwordx8 s[12:19], s[26:27], 0x4
	s_load_dwordx4 s[20:23], s[26:27], 0x24
	s_load_dwordx8 s[4:11], s[28:29], 0x0
	s_add_u32 s26, s26, 48
	s_addc_u32 s27, s27, 0
	s_waitcnt lgkmcnt(0)
	v_mul_hi_u32 v1, s13, v0
	v_add_u32_e32 v1, v0, v1
	v_lshrrev_b32_e32 v1, s14, v1
	v_mul_lo_u32 v3, v1, s12
	v_mul_hi_u32 v4, s16, v1
	v_sub_u32_e32 v0, v0, v3
	v_add_u32_e32 v3, v1, v4
	v_lshrrev_b32_e32 v3, s17, v3
	v_mul_lo_u32 v5, v3, s15
	v_mul_hi_u32 v6, s19, v3
	v_sub_u32_e32 v1, v1, v5
	v_add_u32_e32 v5, v3, v6
	v_mul_lo_u32 v4, v0, s5
	v_mul_lo_u32 v0, v0, s4
	v_mul_lo_u32 v6, v1, s7
	v_mul_lo_u32 v1, v1, s6
	v_lshrrev_b32_e32 v5, s20, v5
	v_add3_u32 v1, v0, v38, v1
	v_add3_u32 v2, v4, v2, v6
	v_mul_lo_u32 v0, v5, s18
	v_mul_hi_u32 v4, s22, v5
	v_sub_u32_e32 v0, v3, v0
	v_add_u32_e32 v3, v5, v4
	v_mul_lo_u32 v4, v0, s8
	v_mul_lo_u32 v6, v0, s9
	v_lshrrev_b32_e32 v0, s23, v3
	s_add_i32 s25, s25, 4
	v_mul_lo_u32 v3, v0, s21
	s_add_u32 s28, s28, 32
	v_sub_u32_e32 v3, v5, v3
	s_addc_u32 s29, s29, 0
	v_mul_lo_u32 v5, v3, s10
	v_mul_lo_u32 v3, v3, s11
	s_cmp_eq_u32 s24, s25
	v_add3_u32 v2, v6, v2, v3
	v_add3_u32 v38, v4, v1, v5
	s_cbranch_scc0 .LBB11_292
; %bb.293:
	v_mov_b32_e32 v39, v2
	s_branch .LBB11_296
.LBB11_294:
	s_mov_b64 s[4:5], -1
                                        ; implicit-def: $vgpr2
                                        ; implicit-def: $vgpr38
	s_branch .LBB11_301
.LBB11_295:
	s_mov_b32 s25, s24
	v_pk_mov_b32 v[38:39], s[24:25], s[24:25] op_sel:[0,1]
                                        ; implicit-def: $vgpr2
	v_mov_b32_e32 v0, v40
.LBB11_296:
	s_and_b32 s8, s30, 3
	s_cmp_eq_u32 s8, 0
	s_cbranch_scc1 .LBB11_300
; %bb.297:
	s_lshl_b32 s4, s24, 3
	s_add_u32 s4, s4, s38
	s_addc_u32 s5, s39, 0
	s_add_u32 s4, s4, 0xc4
	s_addc_u32 s5, s5, 0
	s_mul_i32 s6, s24, 12
	s_add_u32 s6, s38, s6
	s_addc_u32 s7, s39, 0
.LBB11_298:                             ; =>This Inner Loop Header: Depth=1
	s_load_dwordx2 s[10:11], s[6:7], 0x4
	s_load_dword s9, s[6:7], 0xc
	s_load_dwordx2 s[12:13], s[4:5], 0x0
	s_add_u32 s6, s6, 12
	s_addc_u32 s7, s7, 0
	s_waitcnt lgkmcnt(0)
	v_mul_hi_u32 v1, s11, v0
	v_add_u32_e32 v1, v0, v1
	v_lshrrev_b32_e32 v1, s9, v1
	v_mul_lo_u32 v3, v1, s10
	v_mov_b32_e32 v2, v39
	s_add_u32 s4, s4, 8
	v_sub_u32_e32 v4, v0, v3
	s_addc_u32 s5, s5, 0
	s_add_i32 s8, s8, -1
	v_mad_u64_u32 v[2:3], s[10:11], v4, s13, v[2:3]
	v_mad_u64_u32 v[38:39], s[10:11], v4, s12, v[38:39]
	s_cmp_lg_u32 s8, 0
	v_mov_b32_e32 v0, v1
	v_mov_b32_e32 v39, v2
	s_cbranch_scc1 .LBB11_298
; %bb.299:
	v_mov_b32_e32 v2, v39
.LBB11_300:
	s_mov_b64 s[4:5], 0
.LBB11_301:
	s_andn2_b64 vcc, exec, s[4:5]
	s_cbranch_vccnz .LBB11_304
; %bb.302:
	s_waitcnt lgkmcnt(0)
	v_mul_hi_u32 v0, s49, v40
	v_add_u32_e32 v0, v40, v0
	v_lshrrev_b32_e32 v0, s50, v0
	v_mul_lo_u32 v1, v0, s48
	v_sub_u32_e32 v1, v40, v1
	v_mul_lo_u32 v2, v1, s45
	s_andn2_b64 vcc, exec, s[60:61]
	v_mul_lo_u32 v38, v1, s44
	s_cbranch_vccnz .LBB11_304
; %bb.303:
	v_mul_hi_u32 v1, s58, v0
	v_add_u32_e32 v1, v0, v1
	v_lshrrev_b32_e32 v1, s59, v1
	v_mul_lo_u32 v1, v1, s51
	v_sub_u32_e32 v0, v0, v1
	v_mad_u64_u32 v[38:39], s[4:5], v0, s46, v[38:39]
	v_mad_u64_u32 v[2:3], s[4:5], v0, s47, v[2:3]
.LBB11_304:
	s_waitcnt lgkmcnt(0)
	v_mov_b32_e32 v0, s42
	v_mov_b32_e32 v1, s43
	;; [unrolled: 1-line block ×3, first 2 shown]
	s_getpc_b64 s[4:5]
	s_add_u32 s4, s4, _ZN2at6native6invokeIZZZNS0_12_GLOBAL__N_121bessel_j0_kernel_cudaERNS_18TensorIteratorBaseEENKUlvE_clEvENKUlvE_clEvEUldE_j15function_traitsIS7_EEENT1_11result_typeERKT_PrKPcPKT0_PKN3c1010ScalarTypeEi@rel32@lo+4
	s_addc_u32 s5, s5, _ZN2at6native6invokeIZZZNS0_12_GLOBAL__N_121bessel_j0_kernel_cudaERNS_18TensorIteratorBaseEENKUlvE_clEvENKUlvE_clEvEUldE_j15function_traitsIS7_EEENT1_11result_typeERKT_PrKPcPKT0_PKN3c1010ScalarTypeEi@rel32@hi+12
	s_swappc_b64 s[30:31], s[4:5]
	v_mov_b32_e32 v2, s41
	v_add_co_u32_e32 v4, vcc, s40, v38
	v_addc_co_u32_e32 v5, vcc, 0, v2, vcc
	v_mov_b32_e32 v2, 11
	v_cmp_lt_i16_sdwa s[4:5], v41, v2 src0_sel:BYTE_0 src1_sel:DWORD
	s_and_b64 vcc, exec, s[4:5]
	s_cbranch_vccnz .LBB11_311
; %bb.305:
	v_mov_b32_e32 v2, 25
	v_cmp_gt_i16_sdwa s[4:5], v41, v2 src0_sel:BYTE_0 src1_sel:DWORD
	s_and_b64 vcc, exec, s[4:5]
	s_cbranch_vccz .LBB11_312
; %bb.306:
	v_mov_b32_e32 v2, 28
	v_cmp_gt_i16_sdwa s[4:5], v41, v2 src0_sel:BYTE_0 src1_sel:DWORD
	s_and_b64 vcc, exec, s[4:5]
	s_cbranch_vccz .LBB11_313
	;; [unrolled: 5-line block ×4, first 2 shown]
; %bb.309:
	v_mov_b32_e32 v2, 46
	v_cmp_eq_u16_sdwa s[6:7], v41, v2 src0_sel:BYTE_0 src1_sel:DWORD
	s_mov_b64 s[8:9], 0
	s_mov_b64 s[4:5], -1
	s_and_b64 vcc, exec, s[6:7]
	s_mov_b64 s[6:7], 0
	s_cbranch_vccz .LBB11_320
; %bb.310:
	v_cvt_f32_f64_e32 v2, v[0:1]
	v_bfe_u32 v3, v2, 16, 1
	s_movk_i32 s4, 0x7fff
	v_add3_u32 v3, v2, v3, s4
	v_lshrrev_b32_e32 v3, 16, v3
	v_mov_b32_e32 v6, 0x7fc0
	v_cmp_o_f32_e32 vcc, v2, v2
	v_cndmask_b32_e32 v2, v6, v3, vcc
	global_store_dword v[4:5], v2, off
	s_mov_b64 s[6:7], -1
	s_mov_b64 s[4:5], 0
	s_branch .LBB11_320
.LBB11_311:
	s_mov_b64 s[8:9], -1
	s_mov_b64 s[6:7], 0
	s_mov_b64 s[4:5], s[70:71]
	s_branch .LBB11_389
.LBB11_312:
	s_mov_b64 s[8:9], -1
	s_mov_b64 s[6:7], 0
	s_mov_b64 s[4:5], s[70:71]
	s_branch .LBB11_347
.LBB11_313:
	s_mov_b64 s[8:9], -1
	s_mov_b64 s[6:7], 0
	s_mov_b64 s[4:5], s[70:71]
	s_branch .LBB11_330
.LBB11_314:
	s_or_saveexec_b64 s[10:11], s[10:11]
                                        ; implicit-def: $sgpr12
	s_xor_b64 exec, exec, s[10:11]
	s_cbranch_execz .LBB11_198
.LBB11_315:
	s_mov_b32 s12, 0x46000000
	v_add_f32_e64 v3, |v2|, s12
	v_and_b32_e32 v3, 0xff, v3
	v_cmp_ne_u32_e32 vcc, 0, v3
	s_andn2_b64 s[8:9], s[8:9], exec
	s_and_b64 s[14:15], vcc, exec
	s_mov_b32 s12, 0
	s_or_b64 s[8:9], s[8:9], s[14:15]
	s_or_b64 exec, exec, s[10:11]
	v_mov_b32_e32 v6, s12
	s_and_saveexec_b64 s[10:11], s[8:9]
	s_cbranch_execnz .LBB11_199
	s_branch .LBB11_200
.LBB11_316:
	s_mov_b64 s[8:9], -1
	s_mov_b64 s[6:7], 0
	s_mov_b64 s[4:5], s[70:71]
	s_branch .LBB11_326
.LBB11_317:
	s_or_saveexec_b64 s[10:11], s[10:11]
                                        ; implicit-def: $sgpr12
	s_xor_b64 exec, exec, s[10:11]
	s_cbranch_execz .LBB11_211
.LBB11_318:
	s_mov_b32 s12, 0x42800000
	v_add_f32_e64 v3, |v2|, s12
	v_and_b32_e32 v3, 0xff, v3
	v_cmp_ne_u32_e32 vcc, 0, v3
	s_andn2_b64 s[8:9], s[8:9], exec
	s_and_b64 s[14:15], vcc, exec
	s_mov_b32 s12, 0
	s_or_b64 s[8:9], s[8:9], s[14:15]
	s_or_b64 exec, exec, s[10:11]
	v_mov_b32_e32 v6, s12
	s_and_saveexec_b64 s[10:11], s[8:9]
	s_cbranch_execnz .LBB11_212
	s_branch .LBB11_213
.LBB11_319:
	s_mov_b64 s[8:9], -1
	s_mov_b64 s[6:7], 0
	s_mov_b64 s[4:5], s[70:71]
.LBB11_320:
	s_and_b64 vcc, exec, s[8:9]
	s_cbranch_vccz .LBB11_325
; %bb.321:
	v_mov_b32_e32 v2, 44
	v_cmp_eq_u16_sdwa s[8:9], v41, v2 src0_sel:BYTE_0 src1_sel:DWORD
	s_mov_b64 s[4:5], -1
	s_and_b64 vcc, exec, s[8:9]
	s_cbranch_vccz .LBB11_325
; %bb.322:
	v_cvt_f32_f64_e32 v2, v[0:1]
	v_bfe_u32 v3, v2, 23, 8
	s_movk_i32 s4, 0xff
	v_cmp_ne_u32_e32 vcc, s4, v3
	v_mov_b32_e32 v6, 0xff
	s_and_saveexec_b64 s[6:7], vcc
; %bb.323:
	s_mov_b32 s4, 0x3fffff
	v_lshrrev_b32_e32 v6, 23, v2
	v_and_b32_e32 v7, 0x400000, v2
	v_and_or_b32 v2, v2, s4, v3
	v_cmp_ne_u32_e32 vcc, 0, v7
	v_cmp_ne_u32_e64 s[4:5], 0, v2
	s_and_b64 s[4:5], vcc, s[4:5]
	v_cndmask_b32_e64 v2, 0, 1, s[4:5]
	v_add_u32_e32 v6, v6, v2
; %bb.324:
	s_or_b64 exec, exec, s[6:7]
	s_mov_b64 s[6:7], -1
	s_mov_b64 s[4:5], 0
	global_store_byte v[4:5], v6, off
.LBB11_325:
	s_mov_b64 s[8:9], 0
.LBB11_326:
	s_and_b64 vcc, exec, s[8:9]
	s_cbranch_vccz .LBB11_329
; %bb.327:
	v_mov_b32_e32 v2, 29
	v_cmp_eq_u16_sdwa s[8:9], v41, v2 src0_sel:BYTE_0 src1_sel:DWORD
	s_mov_b64 s[4:5], -1
	s_and_b64 vcc, exec, s[8:9]
	s_cbranch_vccz .LBB11_329
; %bb.328:
	v_trunc_f64_e32 v[2:3], v[0:1]
	s_movk_i32 s4, 0xffe0
	v_ldexp_f64 v[6:7], v[2:3], s4
	v_floor_f64_e32 v[6:7], v[6:7]
	v_fmac_f64_e32 v[2:3], 0xc1f00000, v[6:7]
	v_cvt_u32_f64_e32 v9, v[6:7]
	v_cvt_u32_f64_e32 v8, v[2:3]
	global_store_dwordx2 v[4:5], v[8:9], off
	s_mov_b64 s[6:7], -1
	s_mov_b64 s[4:5], 0
.LBB11_329:
	s_mov_b64 s[8:9], 0
.LBB11_330:
	s_and_b64 vcc, exec, s[8:9]
	s_cbranch_vccz .LBB11_346
; %bb.331:
	v_mov_b32_e32 v2, 27
	v_cmp_lt_i16_sdwa s[8:9], v41, v2 src0_sel:BYTE_0 src1_sel:DWORD
	s_mov_b64 s[6:7], -1
	s_and_b64 vcc, exec, s[8:9]
	s_cbranch_vccnz .LBB11_337
; %bb.332:
	v_cmp_gt_i16_sdwa s[8:9], v41, v2 src0_sel:BYTE_0 src1_sel:DWORD
	s_and_b64 vcc, exec, s[8:9]
	v_cvt_u32_f64_e32 v2, v[0:1]
	s_cbranch_vccz .LBB11_334
; %bb.333:
	s_mov_b64 s[6:7], 0
	global_store_dword v[4:5], v2, off
.LBB11_334:
	s_andn2_b64 vcc, exec, s[6:7]
	s_cbranch_vccnz .LBB11_336
; %bb.335:
	global_store_short v[4:5], v2, off
.LBB11_336:
	s_mov_b64 s[6:7], 0
.LBB11_337:
	s_andn2_b64 vcc, exec, s[6:7]
	s_cbranch_vccnz .LBB11_345
; %bb.338:
	v_cvt_f32_f64_e32 v2, v[0:1]
	v_and_b32_e32 v3, 0x7fffffff, v2
	s_mov_b32 s6, 0x43800000
	v_cmp_gt_u32_e32 vcc, s6, v3
	v_mov_b32_e32 v6, 0x80
	s_and_saveexec_b64 s[6:7], vcc
	s_cbranch_execz .LBB11_344
; %bb.339:
	s_mov_b32 s8, 0x3bffffff
	v_cmp_lt_u32_e32 vcc, s8, v3
	s_mov_b64 s[8:9], 0
                                        ; implicit-def: $vgpr3
	s_and_saveexec_b64 s[10:11], vcc
	s_xor_b64 s[10:11], exec, s[10:11]
	s_cbranch_execz .LBB11_1123
; %bb.340:
	v_bfe_u32 v3, v2, 20, 1
	s_mov_b32 s12, 0x487ffff
	v_add3_u32 v3, v2, v3, s12
	s_mov_b64 s[8:9], exec
	v_lshrrev_b32_e32 v3, 20, v3
	s_or_saveexec_b64 s[10:11], s[10:11]
                                        ; implicit-def: $sgpr12
	s_xor_b64 exec, exec, s[10:11]
	s_cbranch_execnz .LBB11_1124
.LBB11_341:
	s_or_b64 exec, exec, s[10:11]
	v_mov_b32_e32 v6, s12
	s_and_saveexec_b64 s[10:11], s[8:9]
.LBB11_342:
	v_lshrrev_b32_e32 v2, 24, v2
	s_movk_i32 s8, 0x80
	v_and_or_b32 v6, v2, s8, v3
.LBB11_343:
	s_or_b64 exec, exec, s[10:11]
.LBB11_344:
	s_or_b64 exec, exec, s[6:7]
	global_store_byte v[4:5], v6, off
.LBB11_345:
	s_mov_b64 s[6:7], -1
.LBB11_346:
	s_mov_b64 s[8:9], 0
.LBB11_347:
	s_and_b64 vcc, exec, s[8:9]
	s_cbranch_vccz .LBB11_388
; %bb.348:
	v_mov_b32_e32 v2, 22
	v_cmp_gt_i16_sdwa s[10:11], v41, v2 src0_sel:BYTE_0 src1_sel:DWORD
	s_mov_b64 s[8:9], -1
	s_and_b64 vcc, exec, s[10:11]
	s_cbranch_vccz .LBB11_380
; %bb.349:
	v_mov_b32_e32 v2, 24
	v_cmp_lt_i16_sdwa s[8:9], v41, v2 src0_sel:BYTE_0 src1_sel:DWORD
	s_mov_b64 s[6:7], -1
	s_and_b64 vcc, exec, s[8:9]
	s_cbranch_vccnz .LBB11_369
; %bb.350:
	v_cmp_gt_i16_sdwa s[8:9], v41, v2 src0_sel:BYTE_0 src1_sel:DWORD
	s_and_b64 vcc, exec, s[8:9]
	s_cbranch_vccz .LBB11_358
; %bb.351:
	v_cvt_f32_f64_e32 v2, v[0:1]
	v_and_b32_e32 v3, 0x7fffffff, v2
	s_mov_b32 s6, 0x47800000
	v_cmp_gt_u32_e32 vcc, s6, v3
	v_mov_b32_e32 v6, 0x80
	s_and_saveexec_b64 s[6:7], vcc
	s_cbranch_execz .LBB11_357
; %bb.352:
	s_mov_b32 s8, 0x37ffffff
	v_cmp_lt_u32_e32 vcc, s8, v3
	s_mov_b64 s[8:9], 0
                                        ; implicit-def: $vgpr3
	s_and_saveexec_b64 s[10:11], vcc
	s_xor_b64 s[10:11], exec, s[10:11]
	s_cbranch_execz .LBB11_1130
; %bb.353:
	v_bfe_u32 v3, v2, 21, 1
	s_mov_b32 s12, 0x88fffff
	v_add3_u32 v3, v2, v3, s12
	s_mov_b64 s[8:9], exec
	v_lshrrev_b32_e32 v3, 21, v3
	s_or_saveexec_b64 s[10:11], s[10:11]
                                        ; implicit-def: $sgpr12
	s_xor_b64 exec, exec, s[10:11]
	s_cbranch_execnz .LBB11_1131
.LBB11_354:
	s_or_b64 exec, exec, s[10:11]
	v_mov_b32_e32 v6, s12
	s_and_saveexec_b64 s[10:11], s[8:9]
.LBB11_355:
	v_lshrrev_b32_e32 v2, 24, v2
	s_movk_i32 s8, 0x80
	v_and_or_b32 v6, v2, s8, v3
.LBB11_356:
	s_or_b64 exec, exec, s[10:11]
.LBB11_357:
	s_or_b64 exec, exec, s[6:7]
	s_mov_b64 s[6:7], 0
	global_store_byte v[4:5], v6, off
.LBB11_358:
	s_and_b64 vcc, exec, s[6:7]
	s_cbranch_vccz .LBB11_368
; %bb.359:
	v_cvt_f32_f64_e32 v2, v[0:1]
	v_and_b32_e32 v6, 0x7fffffff, v2
	s_mov_b32 s6, 0x43f00000
	v_cmp_gt_u32_e32 vcc, s6, v6
                                        ; implicit-def: $vgpr3
	s_and_saveexec_b64 s[6:7], vcc
	s_xor_b64 s[6:7], exec, s[6:7]
	s_cbranch_execz .LBB11_365
; %bb.360:
	s_mov_b32 s8, 0x3c7fffff
	v_cmp_lt_u32_e32 vcc, s8, v6
                                        ; implicit-def: $vgpr3
	s_and_saveexec_b64 s[8:9], vcc
	s_xor_b64 s[8:9], exec, s[8:9]
; %bb.361:
	v_bfe_u32 v3, v2, 20, 1
	s_mov_b32 s10, 0x407ffff
	v_add3_u32 v3, v2, v3, s10
	v_lshrrev_b32_e32 v6, 20, v3
	v_and_b32_e32 v3, 0xff00000, v3
	s_mov_b32 s10, 0x7f00000
	v_mov_b32_e32 v7, 0x7e
	v_cmp_ne_u32_e32 vcc, s10, v3
	v_cndmask_b32_e32 v3, v7, v6, vcc
; %bb.362:
	s_andn2_saveexec_b64 s[8:9], s[8:9]
; %bb.363:
	s_mov_b32 s10, 0x46800000
	v_add_f32_e64 v3, |v2|, s10
; %bb.364:
	s_or_b64 exec, exec, s[8:9]
                                        ; implicit-def: $vgpr6
.LBB11_365:
	s_andn2_saveexec_b64 s[6:7], s[6:7]
; %bb.366:
	s_mov_b32 s8, 0x7f800000
	v_mov_b32_e32 v3, 0x7e
	v_mov_b32_e32 v7, 0x7f
	v_cmp_lt_u32_e32 vcc, s8, v6
	v_cndmask_b32_e32 v3, v3, v7, vcc
; %bb.367:
	s_or_b64 exec, exec, s[6:7]
	v_lshrrev_b32_e32 v2, 24, v2
	s_movk_i32 s6, 0x80
	v_and_or_b32 v2, v2, s6, v3
	global_store_byte v[4:5], v2, off
.LBB11_368:
	s_mov_b64 s[6:7], 0
.LBB11_369:
	s_andn2_b64 vcc, exec, s[6:7]
	s_cbranch_vccnz .LBB11_379
; %bb.370:
	v_cvt_f32_f64_e32 v2, v[0:1]
	v_and_b32_e32 v6, 0x7fffffff, v2
	s_mov_b32 s6, 0x47800000
	v_cmp_gt_u32_e32 vcc, s6, v6
                                        ; implicit-def: $vgpr3
	s_and_saveexec_b64 s[6:7], vcc
	s_xor_b64 s[6:7], exec, s[6:7]
	s_cbranch_execz .LBB11_376
; %bb.371:
	s_mov_b32 s8, 0x387fffff
	v_cmp_lt_u32_e32 vcc, s8, v6
                                        ; implicit-def: $vgpr3
	s_and_saveexec_b64 s[8:9], vcc
	s_xor_b64 s[8:9], exec, s[8:9]
; %bb.372:
	v_bfe_u32 v3, v2, 21, 1
	s_mov_b32 s10, 0x80fffff
	v_add3_u32 v3, v2, v3, s10
	v_lshrrev_b32_e32 v3, 21, v3
; %bb.373:
	s_andn2_saveexec_b64 s[8:9], s[8:9]
; %bb.374:
	s_mov_b32 s10, 0x43000000
	v_add_f32_e64 v3, |v2|, s10
; %bb.375:
	s_or_b64 exec, exec, s[8:9]
                                        ; implicit-def: $vgpr6
.LBB11_376:
	s_andn2_saveexec_b64 s[6:7], s[6:7]
; %bb.377:
	s_mov_b32 s8, 0x7f800000
	v_mov_b32_e32 v3, 0x7c
	v_mov_b32_e32 v7, 0x7f
	v_cmp_lt_u32_e32 vcc, s8, v6
	v_cndmask_b32_e32 v3, v3, v7, vcc
; %bb.378:
	s_or_b64 exec, exec, s[6:7]
	v_lshrrev_b32_e32 v2, 24, v2
	s_movk_i32 s6, 0x80
	v_and_or_b32 v2, v2, s6, v3
	global_store_byte v[4:5], v2, off
.LBB11_379:
	s_mov_b64 s[8:9], 0
	s_mov_b64 s[6:7], -1
.LBB11_380:
	s_andn2_b64 vcc, exec, s[8:9]
	s_cbranch_vccnz .LBB11_388
; %bb.381:
	v_mov_b32_e32 v2, 14
	v_cmp_gt_i16_sdwa s[10:11], v41, v2 src0_sel:BYTE_0 src1_sel:DWORD
	s_mov_b64 s[8:9], -1
	s_and_b64 vcc, exec, s[10:11]
	s_cbranch_vccz .LBB11_385
; %bb.382:
	v_mov_b32_e32 v2, 15
	v_cmp_eq_u16_sdwa s[8:9], v41, v2 src0_sel:BYTE_0 src1_sel:DWORD
	s_mov_b64 s[4:5], -1
	s_and_b64 vcc, exec, s[8:9]
	s_cbranch_vccz .LBB11_384
; %bb.383:
	v_cvt_f32_f64_e32 v2, v[0:1]
	v_bfe_u32 v3, v2, 16, 1
	s_movk_i32 s4, 0x7fff
	v_add3_u32 v3, v2, v3, s4
	v_lshrrev_b32_e32 v3, 16, v3
	v_mov_b32_e32 v6, 0x7fc0
	v_cmp_o_f32_e32 vcc, v2, v2
	v_cndmask_b32_e32 v2, v6, v3, vcc
	global_store_short v[4:5], v2, off
	s_mov_b64 s[6:7], -1
	s_mov_b64 s[4:5], 0
.LBB11_384:
	s_mov_b64 s[8:9], 0
.LBB11_385:
	s_and_b64 vcc, exec, s[8:9]
	s_cbranch_vccz .LBB11_388
; %bb.386:
	v_mov_b32_e32 v2, 11
	v_cmp_eq_u16_sdwa s[8:9], v41, v2 src0_sel:BYTE_0 src1_sel:DWORD
	s_mov_b64 s[4:5], -1
	s_and_b64 vcc, exec, s[8:9]
	s_cbranch_vccz .LBB11_388
; %bb.387:
	v_cmp_neq_f64_e32 vcc, 0, v[0:1]
	s_mov_b64 s[4:5], 0
	v_cndmask_b32_e64 v2, 0, 1, vcc
	s_mov_b64 s[6:7], -1
	global_store_byte v[4:5], v2, off
.LBB11_388:
	s_mov_b64 s[8:9], 0
.LBB11_389:
	s_and_b64 vcc, exec, s[8:9]
	s_cbranch_vccz .LBB11_428
; %bb.390:
	v_mov_b32_e32 v2, 5
	v_cmp_lt_i16_sdwa s[8:9], v41, v2 src0_sel:BYTE_0 src1_sel:DWORD
	s_mov_b64 s[6:7], -1
	s_and_b64 vcc, exec, s[8:9]
	s_cbranch_vccnz .LBB11_411
; %bb.391:
	v_mov_b32_e32 v2, 8
	v_cmp_lt_i16_sdwa s[8:9], v41, v2 src0_sel:BYTE_0 src1_sel:DWORD
	s_and_b64 vcc, exec, s[8:9]
	s_cbranch_vccnz .LBB11_401
; %bb.392:
	v_mov_b32_e32 v2, 9
	v_cmp_lt_i16_sdwa s[8:9], v41, v2 src0_sel:BYTE_0 src1_sel:DWORD
	s_and_b64 vcc, exec, s[8:9]
	s_cbranch_vccnz .LBB11_398
; %bb.393:
	v_cmp_gt_i16_sdwa s[8:9], v41, v2 src0_sel:BYTE_0 src1_sel:DWORD
	s_and_b64 vcc, exec, s[8:9]
	s_cbranch_vccz .LBB11_395
; %bb.394:
	v_mov_b32_e32 v2, 0
	v_mov_b32_e32 v3, v2
	s_mov_b64 s[6:7], 0
	global_store_dwordx4 v[4:5], v[0:3], off
.LBB11_395:
	s_andn2_b64 vcc, exec, s[6:7]
	s_cbranch_vccnz .LBB11_397
; %bb.396:
	v_cvt_f32_f64_e32 v2, v[0:1]
	v_mov_b32_e32 v3, 0
	global_store_dwordx2 v[4:5], v[2:3], off
.LBB11_397:
	s_mov_b64 s[6:7], 0
.LBB11_398:
	s_andn2_b64 vcc, exec, s[6:7]
	s_cbranch_vccnz .LBB11_400
; %bb.399:
	v_cvt_f32_f64_e32 v2, v[0:1]
	v_cvt_f16_f32_e32 v2, v2
	global_store_dword v[4:5], v2, off
.LBB11_400:
	s_mov_b64 s[6:7], 0
.LBB11_401:
	s_andn2_b64 vcc, exec, s[6:7]
	s_cbranch_vccnz .LBB11_410
; %bb.402:
	v_mov_b32_e32 v2, 6
	v_cmp_lt_i16_sdwa s[8:9], v41, v2 src0_sel:BYTE_0 src1_sel:DWORD
	s_mov_b64 s[6:7], -1
	s_and_b64 vcc, exec, s[8:9]
	s_cbranch_vccnz .LBB11_408
; %bb.403:
	v_cmp_gt_i16_sdwa s[8:9], v41, v2 src0_sel:BYTE_0 src1_sel:DWORD
	s_and_b64 vcc, exec, s[8:9]
	s_cbranch_vccz .LBB11_405
; %bb.404:
	s_mov_b64 s[6:7], 0
	global_store_dwordx2 v[4:5], v[0:1], off
.LBB11_405:
	s_andn2_b64 vcc, exec, s[6:7]
	s_cbranch_vccnz .LBB11_407
; %bb.406:
	v_cvt_f32_f64_e32 v2, v[0:1]
	global_store_dword v[4:5], v2, off
.LBB11_407:
	s_mov_b64 s[6:7], 0
.LBB11_408:
	s_andn2_b64 vcc, exec, s[6:7]
	s_cbranch_vccnz .LBB11_410
; %bb.409:
	v_cvt_f32_f64_e32 v2, v[0:1]
	v_cvt_f16_f32_e32 v2, v2
	global_store_short v[4:5], v2, off
.LBB11_410:
	s_mov_b64 s[6:7], 0
.LBB11_411:
	s_andn2_b64 vcc, exec, s[6:7]
	s_cbranch_vccnz .LBB11_427
; %bb.412:
	v_mov_b32_e32 v2, 2
	v_cmp_lt_i16_sdwa s[8:9], v41, v2 src0_sel:BYTE_0 src1_sel:DWORD
	s_mov_b64 s[6:7], -1
	s_and_b64 vcc, exec, s[8:9]
	s_cbranch_vccnz .LBB11_422
; %bb.413:
	v_mov_b32_e32 v2, 3
	v_cmp_lt_i16_sdwa s[8:9], v41, v2 src0_sel:BYTE_0 src1_sel:DWORD
	s_and_b64 vcc, exec, s[8:9]
	s_cbranch_vccnz .LBB11_419
; %bb.414:
	v_cmp_gt_i16_sdwa s[8:9], v41, v2 src0_sel:BYTE_0 src1_sel:DWORD
	s_and_b64 vcc, exec, s[8:9]
	s_cbranch_vccz .LBB11_416
; %bb.415:
	v_trunc_f64_e32 v[2:3], v[0:1]
	s_movk_i32 s6, 0xffe0
	v_ldexp_f64 v[6:7], v[2:3], s6
	v_floor_f64_e32 v[6:7], v[6:7]
	v_fmac_f64_e32 v[2:3], 0xc1f00000, v[6:7]
	v_cvt_i32_f64_e32 v9, v[6:7]
	v_cvt_u32_f64_e32 v8, v[2:3]
	s_mov_b64 s[6:7], 0
	global_store_dwordx2 v[4:5], v[8:9], off
.LBB11_416:
	s_andn2_b64 vcc, exec, s[6:7]
	s_cbranch_vccnz .LBB11_418
; %bb.417:
	v_cvt_i32_f64_e32 v2, v[0:1]
	global_store_dword v[4:5], v2, off
.LBB11_418:
	s_mov_b64 s[6:7], 0
.LBB11_419:
	s_andn2_b64 vcc, exec, s[6:7]
	s_cbranch_vccnz .LBB11_421
; %bb.420:
	v_cvt_i32_f64_e32 v2, v[0:1]
	global_store_short v[4:5], v2, off
.LBB11_421:
	s_mov_b64 s[6:7], 0
.LBB11_422:
	s_andn2_b64 vcc, exec, s[6:7]
	s_cbranch_vccnz .LBB11_427
; %bb.423:
	v_mov_b32_e32 v2, 0
	v_cmp_gt_i16_sdwa s[8:9], v41, v2 src0_sel:BYTE_0 src1_sel:DWORD
	s_mov_b64 s[6:7], -1
	s_and_b64 vcc, exec, s[8:9]
	s_cbranch_vccz .LBB11_425
; %bb.424:
	v_cvt_i32_f64_e32 v2, v[0:1]
	s_mov_b64 s[6:7], 0
	global_store_byte v[4:5], v2, off
.LBB11_425:
	s_andn2_b64 vcc, exec, s[6:7]
	s_cbranch_vccnz .LBB11_427
; %bb.426:
	v_trunc_f64_e32 v[0:1], v[0:1]
	s_movk_i32 s6, 0xffe0
	v_ldexp_f64 v[2:3], v[0:1], s6
	v_floor_f64_e32 v[2:3], v[2:3]
	v_fmac_f64_e32 v[0:1], 0xc1f00000, v[2:3]
	v_cvt_u32_f64_e32 v0, v[0:1]
	global_store_byte v[4:5], v0, off
.LBB11_427:
	s_mov_b64 s[6:7], -1
.LBB11_428:
	s_andn2_b64 vcc, exec, s[6:7]
	s_cbranch_vccnz .LBB11_430
; %bb.429:
	v_add_u32_e32 v40, 0x80, v40
	s_mov_b64 s[6:7], -1
	s_branch .LBB11_431
.LBB11_430:
	s_mov_b64 s[6:7], 0
                                        ; implicit-def: $vgpr40
.LBB11_431:
	s_andn2_b64 s[8:9], s[70:71], exec
	s_and_b64 s[4:5], s[4:5], exec
	s_or_b64 s[76:77], s[8:9], s[4:5]
	s_orn2_b64 s[6:7], s[6:7], exec
.LBB11_432:
	s_or_b64 exec, exec, s[74:75]
	s_mov_b64 s[4:5], 0
	s_mov_b64 s[10:11], 0
                                        ; implicit-def: $vgpr6
                                        ; implicit-def: $vgpr4_vgpr5
                                        ; implicit-def: $vgpr0_vgpr1
	s_and_saveexec_b64 s[74:75], s[6:7]
	s_cbranch_execz .LBB11_528
; %bb.433:
	v_cmp_gt_i32_e32 vcc, s78, v40
	s_mov_b64 s[6:7], 0
	s_mov_b64 s[8:9], s[76:77]
                                        ; implicit-def: $vgpr6
                                        ; implicit-def: $vgpr4_vgpr5
                                        ; implicit-def: $vgpr0_vgpr1
	s_and_saveexec_b64 s[78:79], vcc
	s_cbranch_execz .LBB11_527
; %bb.434:
	s_andn2_b64 vcc, exec, s[54:55]
	s_cbranch_vccnz .LBB11_440
; %bb.435:
	s_mov_b32 s24, 0
	s_andn2_b64 vcc, exec, s[64:65]
	v_mov_b32_e32 v2, 0
	v_mov_b32_e32 v38, 0
	s_cbranch_vccnz .LBB11_446
; %bb.436:
	s_add_i32 s81, s81, 1
	s_cmp_eq_u32 s80, 2
	s_cbranch_scc1 .LBB11_441
; %bb.437:
	s_and_b32 s24, s81, 28
	s_mov_b32 s25, 0
	v_mov_b32_e32 v38, 0
	s_mov_b64 s[26:27], s[38:39]
	v_mov_b32_e32 v0, v40
	v_mov_b32_e32 v2, 0
.LBB11_438:                             ; =>This Inner Loop Header: Depth=1
	s_load_dwordx8 s[12:19], s[26:27], 0x4
	s_load_dwordx4 s[20:23], s[26:27], 0x24
	s_load_dwordx8 s[4:11], s[62:63], 0x0
	s_add_u32 s26, s26, 48
	s_addc_u32 s27, s27, 0
	s_waitcnt lgkmcnt(0)
	v_mul_hi_u32 v1, s13, v0
	v_add_u32_e32 v1, v0, v1
	v_lshrrev_b32_e32 v1, s14, v1
	v_mul_lo_u32 v3, v1, s12
	v_mul_hi_u32 v4, s16, v1
	v_sub_u32_e32 v0, v0, v3
	v_add_u32_e32 v3, v1, v4
	v_lshrrev_b32_e32 v3, s17, v3
	v_mul_lo_u32 v5, v3, s15
	v_mul_hi_u32 v6, s19, v3
	v_sub_u32_e32 v1, v1, v5
	v_add_u32_e32 v5, v3, v6
	v_mul_lo_u32 v4, v0, s5
	v_mul_lo_u32 v0, v0, s4
	;; [unrolled: 1-line block ×4, first 2 shown]
	v_lshrrev_b32_e32 v5, s20, v5
	v_add3_u32 v1, v0, v38, v1
	v_add3_u32 v2, v4, v2, v6
	v_mul_lo_u32 v0, v5, s18
	v_mul_hi_u32 v4, s22, v5
	v_sub_u32_e32 v0, v3, v0
	v_add_u32_e32 v3, v5, v4
	v_mul_lo_u32 v4, v0, s8
	v_mul_lo_u32 v6, v0, s9
	v_lshrrev_b32_e32 v0, s23, v3
	s_add_i32 s25, s25, 4
	v_mul_lo_u32 v3, v0, s21
	s_add_u32 s62, s62, 32
	v_sub_u32_e32 v3, v5, v3
	s_addc_u32 s63, s63, 0
	v_mul_lo_u32 v5, v3, s10
	v_mul_lo_u32 v3, v3, s11
	s_cmp_eq_u32 s24, s25
	v_add3_u32 v2, v6, v2, v3
	v_add3_u32 v38, v4, v1, v5
	s_cbranch_scc0 .LBB11_438
; %bb.439:
	v_mov_b32_e32 v39, v2
	s_branch .LBB11_442
.LBB11_440:
	s_mov_b64 s[4:5], -1
                                        ; implicit-def: $vgpr2
                                        ; implicit-def: $vgpr38
	s_branch .LBB11_447
.LBB11_441:
	s_mov_b32 s25, s24
	v_pk_mov_b32 v[38:39], s[24:25], s[24:25] op_sel:[0,1]
                                        ; implicit-def: $vgpr2
	v_mov_b32_e32 v0, v40
.LBB11_442:
	s_and_b32 s8, s81, 3
	s_cmp_eq_u32 s8, 0
	s_cbranch_scc1 .LBB11_446
; %bb.443:
	s_lshl_b32 s4, s24, 3
	s_add_u32 s4, s4, s38
	s_addc_u32 s5, s39, 0
	s_add_u32 s4, s4, 0xc4
	s_addc_u32 s5, s5, 0
	s_mul_i32 s6, s24, 12
	s_add_u32 s6, s38, s6
	s_addc_u32 s7, s39, 0
.LBB11_444:                             ; =>This Inner Loop Header: Depth=1
	s_load_dwordx2 s[10:11], s[6:7], 0x4
	s_load_dword s9, s[6:7], 0xc
	s_load_dwordx2 s[12:13], s[4:5], 0x0
	s_add_u32 s6, s6, 12
	s_addc_u32 s7, s7, 0
	s_waitcnt lgkmcnt(0)
	v_mul_hi_u32 v1, s11, v0
	v_add_u32_e32 v1, v0, v1
	v_lshrrev_b32_e32 v1, s9, v1
	v_mul_lo_u32 v3, v1, s10
	v_mov_b32_e32 v2, v39
	s_add_u32 s4, s4, 8
	v_sub_u32_e32 v4, v0, v3
	s_addc_u32 s5, s5, 0
	s_add_i32 s8, s8, -1
	v_mad_u64_u32 v[2:3], s[10:11], v4, s13, v[2:3]
	v_mad_u64_u32 v[38:39], s[10:11], v4, s12, v[38:39]
	s_cmp_lg_u32 s8, 0
	v_mov_b32_e32 v0, v1
	v_mov_b32_e32 v39, v2
	s_cbranch_scc1 .LBB11_444
; %bb.445:
	v_mov_b32_e32 v2, v39
.LBB11_446:
	s_mov_b64 s[4:5], 0
.LBB11_447:
	s_andn2_b64 vcc, exec, s[4:5]
	s_cbranch_vccnz .LBB11_450
; %bb.448:
	s_waitcnt lgkmcnt(0)
	v_mul_hi_u32 v0, s49, v40
	v_add_u32_e32 v0, v40, v0
	v_lshrrev_b32_e32 v0, s50, v0
	v_mul_lo_u32 v1, v0, s48
	v_sub_u32_e32 v1, v40, v1
	v_mul_lo_u32 v2, v1, s45
	s_andn2_b64 vcc, exec, s[60:61]
	v_mul_lo_u32 v38, v1, s44
	s_cbranch_vccnz .LBB11_450
; %bb.449:
	v_mul_hi_u32 v1, s58, v0
	v_add_u32_e32 v1, v0, v1
	v_lshrrev_b32_e32 v1, s59, v1
	v_mul_lo_u32 v1, v1, s51
	v_sub_u32_e32 v0, v0, v1
	v_mad_u64_u32 v[38:39], s[4:5], v0, s46, v[38:39]
	v_mad_u64_u32 v[2:3], s[4:5], v0, s47, v[2:3]
.LBB11_450:
	s_waitcnt lgkmcnt(0)
	v_mov_b32_e32 v0, s42
	v_mov_b32_e32 v1, s43
	;; [unrolled: 1-line block ×3, first 2 shown]
	s_getpc_b64 s[4:5]
	s_add_u32 s4, s4, _ZN2at6native6invokeIZZZNS0_12_GLOBAL__N_121bessel_j0_kernel_cudaERNS_18TensorIteratorBaseEENKUlvE_clEvENKUlvE_clEvEUldE_j15function_traitsIS7_EEENT1_11result_typeERKT_PrKPcPKT0_PKN3c1010ScalarTypeEi@rel32@lo+4
	s_addc_u32 s5, s5, _ZN2at6native6invokeIZZZNS0_12_GLOBAL__N_121bessel_j0_kernel_cudaERNS_18TensorIteratorBaseEENKUlvE_clEvENKUlvE_clEvEUldE_j15function_traitsIS7_EEENT1_11result_typeERKT_PrKPcPKT0_PKN3c1010ScalarTypeEi@rel32@hi+12
	s_swappc_b64 s[30:31], s[4:5]
	v_mov_b32_e32 v2, s41
	v_add_co_u32_e32 v4, vcc, s40, v38
	v_addc_co_u32_e32 v5, vcc, 0, v2, vcc
	v_and_b32_e32 v6, 0xff, v41
	v_cmp_gt_i16_e32 vcc, 11, v6
	s_cbranch_vccnz .LBB11_524
; %bb.451:
	v_cmp_lt_i16_e32 vcc, 25, v6
	s_mov_b64 s[8:9], -1
	s_mov_b64 s[4:5], s[76:77]
	s_cbranch_vccz .LBB11_484
; %bb.452:
	v_cmp_lt_i16_e32 vcc, 28, v6
	s_mov_b64 s[6:7], -1
	s_mov_b64 s[4:5], s[76:77]
	s_cbranch_vccz .LBB11_468
; %bb.453:
	v_cmp_lt_i16_e32 vcc, 43, v6
	s_mov_b64 s[4:5], s[76:77]
	s_cbranch_vccz .LBB11_464
; %bb.454:
	v_cmp_lt_i16_e32 vcc, 45, v6
	s_mov_b64 s[4:5], s[76:77]
	s_cbranch_vccz .LBB11_458
; %bb.455:
	v_cmp_eq_u16_e32 vcc, 46, v6
	s_mov_b64 s[4:5], -1
	s_cbranch_vccz .LBB11_457
; %bb.456:
	v_cvt_f32_f64_e32 v2, v[0:1]
	v_bfe_u32 v3, v2, 16, 1
	s_movk_i32 s4, 0x7fff
	v_add3_u32 v3, v2, v3, s4
	v_lshrrev_b32_e32 v3, 16, v3
	v_mov_b32_e32 v7, 0x7fc0
	v_cmp_o_f32_e32 vcc, v2, v2
	v_cndmask_b32_e32 v2, v7, v3, vcc
	global_store_dword v[4:5], v2, off
	s_mov_b64 s[4:5], 0
.LBB11_457:
	s_mov_b64 s[6:7], 0
.LBB11_458:
	s_and_b64 vcc, exec, s[6:7]
	s_cbranch_vccz .LBB11_463
; %bb.459:
	v_cmp_eq_u16_e32 vcc, 44, v6
	s_mov_b64 s[4:5], -1
	s_cbranch_vccz .LBB11_463
; %bb.460:
	v_cvt_f32_f64_e32 v2, v[0:1]
	v_bfe_u32 v3, v2, 23, 8
	s_movk_i32 s4, 0xff
	v_cmp_ne_u32_e32 vcc, s4, v3
	v_mov_b32_e32 v7, 0xff
	s_and_saveexec_b64 s[6:7], vcc
; %bb.461:
	s_mov_b32 s4, 0x3fffff
	v_lshrrev_b32_e32 v7, 23, v2
	v_and_b32_e32 v8, 0x400000, v2
	v_and_or_b32 v2, v2, s4, v3
	v_cmp_ne_u32_e32 vcc, 0, v8
	v_cmp_ne_u32_e64 s[4:5], 0, v2
	s_and_b64 s[4:5], vcc, s[4:5]
	v_cndmask_b32_e64 v2, 0, 1, s[4:5]
	v_add_u32_e32 v7, v7, v2
; %bb.462:
	s_or_b64 exec, exec, s[6:7]
	s_mov_b64 s[4:5], 0
	global_store_byte v[4:5], v7, off
.LBB11_463:
	s_mov_b64 s[6:7], 0
.LBB11_464:
	s_and_b64 vcc, exec, s[6:7]
	s_cbranch_vccz .LBB11_467
; %bb.465:
	v_cmp_eq_u16_e32 vcc, 29, v6
	s_mov_b64 s[4:5], -1
	s_cbranch_vccz .LBB11_467
; %bb.466:
	v_trunc_f64_e32 v[2:3], v[0:1]
	s_movk_i32 s4, 0xffe0
	v_ldexp_f64 v[8:9], v[2:3], s4
	v_floor_f64_e32 v[8:9], v[8:9]
	v_fmac_f64_e32 v[2:3], 0xc1f00000, v[8:9]
	v_cvt_u32_f64_e32 v11, v[8:9]
	v_cvt_u32_f64_e32 v10, v[2:3]
	global_store_dwordx2 v[4:5], v[10:11], off
	s_mov_b64 s[4:5], 0
.LBB11_467:
	s_mov_b64 s[6:7], 0
.LBB11_468:
	s_and_b64 vcc, exec, s[6:7]
	s_cbranch_vccz .LBB11_483
; %bb.469:
	v_cmp_gt_i16_e32 vcc, 27, v6
	s_mov_b64 s[6:7], -1
	s_cbranch_vccnz .LBB11_475
; %bb.470:
	v_cmp_lt_i16_e32 vcc, 27, v6
	v_cvt_u32_f64_e32 v2, v[0:1]
	s_cbranch_vccz .LBB11_472
; %bb.471:
	s_mov_b64 s[6:7], 0
	global_store_dword v[4:5], v2, off
.LBB11_472:
	s_andn2_b64 vcc, exec, s[6:7]
	s_cbranch_vccnz .LBB11_474
; %bb.473:
	global_store_short v[4:5], v2, off
.LBB11_474:
	s_mov_b64 s[6:7], 0
.LBB11_475:
	s_andn2_b64 vcc, exec, s[6:7]
	s_cbranch_vccnz .LBB11_483
; %bb.476:
	v_cvt_f32_f64_e32 v2, v[0:1]
	v_and_b32_e32 v3, 0x7fffffff, v2
	s_mov_b32 s6, 0x43800000
	v_cmp_gt_u32_e32 vcc, s6, v3
	v_mov_b32_e32 v7, 0x80
	s_and_saveexec_b64 s[6:7], vcc
	s_cbranch_execz .LBB11_482
; %bb.477:
	s_mov_b32 s8, 0x3bffffff
	v_cmp_lt_u32_e32 vcc, s8, v3
	s_mov_b64 s[8:9], 0
                                        ; implicit-def: $vgpr3
	s_and_saveexec_b64 s[10:11], vcc
	s_xor_b64 s[10:11], exec, s[10:11]
	s_cbranch_execz .LBB11_1132
; %bb.478:
	v_bfe_u32 v3, v2, 20, 1
	s_mov_b32 s12, 0x487ffff
	v_add3_u32 v3, v2, v3, s12
	s_mov_b64 s[8:9], exec
	v_lshrrev_b32_e32 v3, 20, v3
	s_or_saveexec_b64 s[10:11], s[10:11]
                                        ; implicit-def: $sgpr12
	s_xor_b64 exec, exec, s[10:11]
	s_cbranch_execnz .LBB11_1133
.LBB11_479:
	s_or_b64 exec, exec, s[10:11]
	v_mov_b32_e32 v7, s12
	s_and_saveexec_b64 s[10:11], s[8:9]
.LBB11_480:
	v_lshrrev_b32_e32 v2, 24, v2
	s_movk_i32 s8, 0x80
	v_and_or_b32 v7, v2, s8, v3
.LBB11_481:
	s_or_b64 exec, exec, s[10:11]
.LBB11_482:
	s_or_b64 exec, exec, s[6:7]
	global_store_byte v[4:5], v7, off
.LBB11_483:
	s_mov_b64 s[8:9], 0
.LBB11_484:
	s_mov_b64 s[6:7], 0
	s_and_b64 vcc, exec, s[8:9]
	s_cbranch_vccz .LBB11_525
; %bb.485:
	v_cmp_lt_i16_e32 vcc, 22, v6
	s_mov_b64 s[8:9], -1
	s_cbranch_vccz .LBB11_517
; %bb.486:
	v_cmp_gt_i16_e32 vcc, 24, v6
	s_cbranch_vccnz .LBB11_506
; %bb.487:
	v_cmp_lt_i16_e32 vcc, 24, v6
	s_cbranch_vccz .LBB11_495
; %bb.488:
	v_cvt_f32_f64_e32 v2, v[0:1]
	v_and_b32_e32 v3, 0x7fffffff, v2
	s_mov_b32 s8, 0x47800000
	v_cmp_gt_u32_e32 vcc, s8, v3
	v_mov_b32_e32 v7, 0x80
	s_and_saveexec_b64 s[8:9], vcc
	s_cbranch_execz .LBB11_494
; %bb.489:
	s_mov_b32 s10, 0x37ffffff
	v_cmp_lt_u32_e32 vcc, s10, v3
	s_mov_b64 s[10:11], 0
                                        ; implicit-def: $vgpr3
	s_and_saveexec_b64 s[12:13], vcc
	s_xor_b64 s[12:13], exec, s[12:13]
	s_cbranch_execz .LBB11_1136
; %bb.490:
	v_bfe_u32 v3, v2, 21, 1
	s_mov_b32 s14, 0x88fffff
	v_add3_u32 v3, v2, v3, s14
	s_mov_b64 s[10:11], exec
	v_lshrrev_b32_e32 v3, 21, v3
	s_or_saveexec_b64 s[12:13], s[12:13]
                                        ; implicit-def: $sgpr14
	s_xor_b64 exec, exec, s[12:13]
	s_cbranch_execnz .LBB11_1137
.LBB11_491:
	s_or_b64 exec, exec, s[12:13]
	v_mov_b32_e32 v7, s14
	s_and_saveexec_b64 s[12:13], s[10:11]
.LBB11_492:
	v_lshrrev_b32_e32 v2, 24, v2
	s_movk_i32 s10, 0x80
	v_and_or_b32 v7, v2, s10, v3
.LBB11_493:
	s_or_b64 exec, exec, s[12:13]
.LBB11_494:
	s_or_b64 exec, exec, s[8:9]
	s_mov_b64 s[8:9], 0
	global_store_byte v[4:5], v7, off
.LBB11_495:
	s_and_b64 vcc, exec, s[8:9]
	s_cbranch_vccz .LBB11_505
; %bb.496:
	v_cvt_f32_f64_e32 v2, v[0:1]
	v_and_b32_e32 v7, 0x7fffffff, v2
	s_mov_b32 s8, 0x43f00000
	v_cmp_gt_u32_e32 vcc, s8, v7
                                        ; implicit-def: $vgpr3
	s_and_saveexec_b64 s[8:9], vcc
	s_xor_b64 s[8:9], exec, s[8:9]
	s_cbranch_execz .LBB11_502
; %bb.497:
	s_mov_b32 s10, 0x3c7fffff
	v_cmp_lt_u32_e32 vcc, s10, v7
                                        ; implicit-def: $vgpr3
	s_and_saveexec_b64 s[10:11], vcc
	s_xor_b64 s[10:11], exec, s[10:11]
; %bb.498:
	v_bfe_u32 v3, v2, 20, 1
	s_mov_b32 s12, 0x407ffff
	v_add3_u32 v3, v2, v3, s12
	v_lshrrev_b32_e32 v7, 20, v3
	v_and_b32_e32 v3, 0xff00000, v3
	s_mov_b32 s12, 0x7f00000
	v_mov_b32_e32 v8, 0x7e
	v_cmp_ne_u32_e32 vcc, s12, v3
	v_cndmask_b32_e32 v3, v8, v7, vcc
; %bb.499:
	s_andn2_saveexec_b64 s[10:11], s[10:11]
; %bb.500:
	s_mov_b32 s12, 0x46800000
	v_add_f32_e64 v3, |v2|, s12
; %bb.501:
	s_or_b64 exec, exec, s[10:11]
                                        ; implicit-def: $vgpr7
.LBB11_502:
	s_andn2_saveexec_b64 s[8:9], s[8:9]
; %bb.503:
	s_mov_b32 s10, 0x7f800000
	v_mov_b32_e32 v3, 0x7e
	v_mov_b32_e32 v8, 0x7f
	v_cmp_lt_u32_e32 vcc, s10, v7
	v_cndmask_b32_e32 v3, v3, v8, vcc
; %bb.504:
	s_or_b64 exec, exec, s[8:9]
	v_lshrrev_b32_e32 v2, 24, v2
	s_movk_i32 s8, 0x80
	v_and_or_b32 v2, v2, s8, v3
	global_store_byte v[4:5], v2, off
.LBB11_505:
	s_mov_b64 s[8:9], 0
.LBB11_506:
	s_andn2_b64 vcc, exec, s[8:9]
	s_cbranch_vccnz .LBB11_516
; %bb.507:
	v_cvt_f32_f64_e32 v2, v[0:1]
	v_and_b32_e32 v7, 0x7fffffff, v2
	s_mov_b32 s8, 0x47800000
	v_cmp_gt_u32_e32 vcc, s8, v7
                                        ; implicit-def: $vgpr3
	s_and_saveexec_b64 s[8:9], vcc
	s_xor_b64 s[8:9], exec, s[8:9]
	s_cbranch_execz .LBB11_513
; %bb.508:
	s_mov_b32 s10, 0x387fffff
	v_cmp_lt_u32_e32 vcc, s10, v7
                                        ; implicit-def: $vgpr3
	s_and_saveexec_b64 s[10:11], vcc
	s_xor_b64 s[10:11], exec, s[10:11]
; %bb.509:
	v_bfe_u32 v3, v2, 21, 1
	s_mov_b32 s12, 0x80fffff
	v_add3_u32 v3, v2, v3, s12
	v_lshrrev_b32_e32 v3, 21, v3
; %bb.510:
	s_andn2_saveexec_b64 s[10:11], s[10:11]
; %bb.511:
	s_mov_b32 s12, 0x43000000
	v_add_f32_e64 v3, |v2|, s12
; %bb.512:
	s_or_b64 exec, exec, s[10:11]
                                        ; implicit-def: $vgpr7
.LBB11_513:
	s_andn2_saveexec_b64 s[8:9], s[8:9]
; %bb.514:
	s_mov_b32 s10, 0x7f800000
	v_mov_b32_e32 v3, 0x7c
	v_mov_b32_e32 v8, 0x7f
	v_cmp_lt_u32_e32 vcc, s10, v7
	v_cndmask_b32_e32 v3, v3, v8, vcc
; %bb.515:
	s_or_b64 exec, exec, s[8:9]
	v_lshrrev_b32_e32 v2, 24, v2
	s_movk_i32 s8, 0x80
	v_and_or_b32 v2, v2, s8, v3
	global_store_byte v[4:5], v2, off
.LBB11_516:
	s_mov_b64 s[8:9], 0
.LBB11_517:
	s_andn2_b64 vcc, exec, s[8:9]
	s_mov_b64 s[8:9], 0
	s_cbranch_vccnz .LBB11_526
; %bb.518:
	v_cmp_lt_i16_e32 vcc, 14, v6
	s_mov_b64 s[10:11], -1
	s_cbranch_vccz .LBB11_522
; %bb.519:
	v_cmp_eq_u16_e32 vcc, 15, v6
	s_mov_b64 s[4:5], -1
	s_cbranch_vccz .LBB11_521
; %bb.520:
	v_cvt_f32_f64_e32 v2, v[0:1]
	v_bfe_u32 v3, v2, 16, 1
	s_movk_i32 s4, 0x7fff
	v_add3_u32 v3, v2, v3, s4
	v_lshrrev_b32_e32 v3, 16, v3
	v_mov_b32_e32 v7, 0x7fc0
	v_cmp_o_f32_e32 vcc, v2, v2
	v_cndmask_b32_e32 v2, v7, v3, vcc
	global_store_short v[4:5], v2, off
	s_mov_b64 s[4:5], 0
.LBB11_521:
	s_mov_b64 s[10:11], 0
.LBB11_522:
	s_and_b64 vcc, exec, s[10:11]
	s_cbranch_vccz .LBB11_526
; %bb.523:
	v_cmp_ne_u16_e32 vcc, 11, v6
	s_andn2_b64 s[4:5], s[4:5], exec
	s_and_b64 s[10:11], vcc, exec
	s_mov_b64 s[8:9], -1
	s_or_b64 s[4:5], s[4:5], s[10:11]
	s_branch .LBB11_526
.LBB11_524:
	s_mov_b64 s[8:9], 0
	s_mov_b64 s[6:7], -1
	s_mov_b64 s[4:5], s[76:77]
	s_branch .LBB11_526
.LBB11_525:
	s_mov_b64 s[8:9], 0
.LBB11_526:
	s_and_b64 s[10:11], s[6:7], exec
	s_and_b64 s[6:7], s[8:9], exec
	s_andn2_b64 s[8:9], s[76:77], exec
	s_and_b64 s[4:5], s[4:5], exec
	s_or_b64 s[8:9], s[8:9], s[4:5]
.LBB11_527:
	s_or_b64 exec, exec, s[78:79]
	s_and_b64 s[4:5], s[6:7], exec
	s_andn2_b64 s[6:7], s[76:77], exec
	s_and_b64 s[8:9], s[8:9], exec
	s_and_b64 s[10:11], s[10:11], exec
	s_or_b64 s[76:77], s[6:7], s[8:9]
.LBB11_528:
	s_or_b64 exec, exec, s[74:75]
	s_and_b64 s[6:7], s[10:11], exec
	s_andn2_b64 s[8:9], s[70:71], exec
	s_and_b64 s[10:11], s[76:77], exec
	s_and_b64 s[4:5], s[4:5], exec
	s_or_b64 s[70:71], s[8:9], s[10:11]
.LBB11_529:
	s_or_b64 exec, exec, s[72:73]
	s_and_b64 s[72:73], s[4:5], exec
	s_andn2_b64 s[4:5], s[66:67], exec
	s_and_b64 s[8:9], s[70:71], exec
	s_and_b64 s[6:7], s[6:7], exec
	s_or_b64 s[66:67], s[4:5], s[8:9]
	s_or_b64 exec, exec, s[68:69]
	s_mov_b64 s[4:5], 0
	s_and_saveexec_b64 s[8:9], s[66:67]
	s_cbranch_execz .LBB11_148
.LBB11_530:
	s_mov_b64 s[4:5], exec
	s_andn2_b64 s[72:73], s[72:73], exec
	s_trap 2
	s_or_b64 exec, exec, s[8:9]
	s_and_saveexec_b64 s[8:9], s[72:73]
	s_xor_b64 s[8:9], exec, s[8:9]
	s_cbranch_execnz .LBB11_149
.LBB11_531:
	s_or_b64 exec, exec, s[8:9]
	s_and_saveexec_b64 s[8:9], s[6:7]
	s_xor_b64 s[6:7], exec, s[8:9]
	s_cbranch_execz .LBB11_569
.LBB11_532:
	v_cmp_gt_i16_e32 vcc, 5, v6
	s_mov_b64 s[8:9], -1
	s_cbranch_vccnz .LBB11_553
; %bb.533:
	v_cmp_gt_i16_e32 vcc, 8, v6
	s_cbranch_vccnz .LBB11_543
; %bb.534:
	v_cmp_gt_i16_e32 vcc, 9, v6
	s_cbranch_vccnz .LBB11_540
; %bb.535:
	v_cmp_lt_i16_e32 vcc, 9, v6
	s_cbranch_vccz .LBB11_537
; %bb.536:
	v_mov_b32_e32 v2, 0
	v_mov_b32_e32 v3, v2
	s_mov_b64 s[8:9], 0
	global_store_dwordx4 v[4:5], v[0:3], off
.LBB11_537:
	s_andn2_b64 vcc, exec, s[8:9]
	s_cbranch_vccnz .LBB11_539
; %bb.538:
	v_cvt_f32_f64_e32 v2, v[0:1]
	v_mov_b32_e32 v3, 0
	global_store_dwordx2 v[4:5], v[2:3], off
.LBB11_539:
	s_mov_b64 s[8:9], 0
.LBB11_540:
	s_andn2_b64 vcc, exec, s[8:9]
	s_cbranch_vccnz .LBB11_542
; %bb.541:
	v_cvt_f32_f64_e32 v2, v[0:1]
	v_cvt_f16_f32_e32 v2, v2
	global_store_dword v[4:5], v2, off
.LBB11_542:
	s_mov_b64 s[8:9], 0
.LBB11_543:
	s_andn2_b64 vcc, exec, s[8:9]
	s_cbranch_vccnz .LBB11_552
; %bb.544:
	v_cmp_gt_i16_e32 vcc, 6, v6
	s_mov_b64 s[8:9], -1
	s_cbranch_vccnz .LBB11_550
; %bb.545:
	v_cmp_lt_i16_e32 vcc, 6, v6
	s_cbranch_vccz .LBB11_547
; %bb.546:
	s_mov_b64 s[8:9], 0
	global_store_dwordx2 v[4:5], v[0:1], off
.LBB11_547:
	s_andn2_b64 vcc, exec, s[8:9]
	s_cbranch_vccnz .LBB11_549
; %bb.548:
	v_cvt_f32_f64_e32 v2, v[0:1]
	global_store_dword v[4:5], v2, off
.LBB11_549:
	s_mov_b64 s[8:9], 0
.LBB11_550:
	s_andn2_b64 vcc, exec, s[8:9]
	s_cbranch_vccnz .LBB11_552
; %bb.551:
	v_cvt_f32_f64_e32 v2, v[0:1]
	v_cvt_f16_f32_e32 v2, v2
	global_store_short v[4:5], v2, off
.LBB11_552:
	s_mov_b64 s[8:9], 0
.LBB11_553:
	s_andn2_b64 vcc, exec, s[8:9]
	s_cbranch_vccnz .LBB11_569
; %bb.554:
	v_cmp_gt_i16_e32 vcc, 2, v6
	s_mov_b64 s[8:9], -1
	s_cbranch_vccnz .LBB11_564
; %bb.555:
	v_cmp_gt_i16_e32 vcc, 3, v6
	s_cbranch_vccnz .LBB11_561
; %bb.556:
	v_cmp_lt_i16_e32 vcc, 3, v6
	s_cbranch_vccz .LBB11_558
; %bb.557:
	v_trunc_f64_e32 v[2:3], v[0:1]
	s_movk_i32 s8, 0xffe0
	v_ldexp_f64 v[8:9], v[2:3], s8
	v_floor_f64_e32 v[8:9], v[8:9]
	v_fmac_f64_e32 v[2:3], 0xc1f00000, v[8:9]
	v_cvt_i32_f64_e32 v11, v[8:9]
	v_cvt_u32_f64_e32 v10, v[2:3]
	s_mov_b64 s[8:9], 0
	global_store_dwordx2 v[4:5], v[10:11], off
.LBB11_558:
	s_andn2_b64 vcc, exec, s[8:9]
	s_cbranch_vccnz .LBB11_560
; %bb.559:
	v_cvt_i32_f64_e32 v2, v[0:1]
	global_store_dword v[4:5], v2, off
.LBB11_560:
	s_mov_b64 s[8:9], 0
.LBB11_561:
	s_andn2_b64 vcc, exec, s[8:9]
	s_cbranch_vccnz .LBB11_563
; %bb.562:
	v_cvt_i32_f64_e32 v2, v[0:1]
	global_store_short v[4:5], v2, off
.LBB11_563:
	s_mov_b64 s[8:9], 0
.LBB11_564:
	s_andn2_b64 vcc, exec, s[8:9]
	s_cbranch_vccnz .LBB11_569
; %bb.565:
	v_cmp_lt_i16_e32 vcc, 0, v6
	s_mov_b64 s[8:9], -1
	s_cbranch_vccz .LBB11_567
; %bb.566:
	v_cvt_i32_f64_e32 v2, v[0:1]
	s_mov_b64 s[8:9], 0
	global_store_byte v[4:5], v2, off
.LBB11_567:
	s_andn2_b64 vcc, exec, s[8:9]
	s_cbranch_vccnz .LBB11_569
; %bb.568:
	v_trunc_f64_e32 v[0:1], v[0:1]
	s_movk_i32 s8, 0xffe0
	v_ldexp_f64 v[2:3], v[0:1], s8
	v_floor_f64_e32 v[2:3], v[2:3]
	v_fmac_f64_e32 v[0:1], 0xc1f00000, v[2:3]
	v_cvt_u32_f64_e32 v0, v[0:1]
	global_store_byte v[4:5], v0, off
.LBB11_569:
	s_or_b64 exec, exec, s[6:7]
	s_waitcnt lgkmcnt(0)
	s_and_b64 s[44:45], s[4:5], exec
                                        ; implicit-def: $vgpr6
                                        ; implicit-def: $vgpr40
.LBB11_570:
	s_or_saveexec_b64 s[46:47], s[56:57]
	s_mov_b64 s[4:5], 0
                                        ; implicit-def: $vgpr7
                                        ; implicit-def: $vgpr4_vgpr5
                                        ; implicit-def: $vgpr0_vgpr1
	s_xor_b64 exec, exec, s[46:47]
	s_cbranch_execz .LBB11_1077
; %bb.571:
	v_cndmask_b32_e64 v0, 0, 1, s[54:55]
	v_cmp_ne_u32_e64 s[4:5], 1, v0
	s_andn2_b64 vcc, exec, s[54:55]
	s_cbranch_vccnz .LBB11_578
; %bb.572:
	s_mov_b32 s6, 0
	s_cmp_lg_u32 s33, 0
	v_mov_b32_e32 v2, 0
	v_mov_b32_e32 v54, 0
	s_cbranch_scc0 .LBB11_577
; %bb.573:
	s_min_u32 s34, s80, 15
	s_add_i32 s34, s34, 1
	s_cmp_eq_u32 s80, 2
	s_cbranch_scc1 .LBB11_579
; %bb.574:
	s_add_u32 s28, s38, 0xc4
	s_addc_u32 s29, s39, 0
	s_and_b32 s6, s34, 28
	s_mov_b32 s7, 0
	v_mov_b32_e32 v54, 0
	s_mov_b64 s[30:31], s[38:39]
	v_mov_b32_e32 v0, v40
	v_mov_b32_e32 v2, 0
.LBB11_575:                             ; =>This Inner Loop Header: Depth=1
	s_load_dwordx8 s[16:23], s[30:31], 0x4
	s_load_dwordx4 s[24:27], s[30:31], 0x24
	s_load_dwordx8 s[8:15], s[28:29], 0x0
	s_add_u32 s30, s30, 48
	s_addc_u32 s31, s31, 0
	s_waitcnt lgkmcnt(0)
	v_mul_hi_u32 v1, s17, v0
	v_add_u32_e32 v1, v0, v1
	v_lshrrev_b32_e32 v1, s18, v1
	v_mul_lo_u32 v3, v1, s16
	v_mul_hi_u32 v4, s20, v1
	v_sub_u32_e32 v0, v0, v3
	v_add_u32_e32 v3, v1, v4
	v_lshrrev_b32_e32 v3, s21, v3
	v_mul_lo_u32 v5, v3, s19
	v_mul_hi_u32 v7, s23, v3
	v_sub_u32_e32 v1, v1, v5
	v_add_u32_e32 v5, v3, v7
	v_mul_lo_u32 v4, v0, s9
	v_mul_lo_u32 v0, v0, s8
	;; [unrolled: 1-line block ×4, first 2 shown]
	v_lshrrev_b32_e32 v5, s24, v5
	v_add3_u32 v1, v0, v54, v1
	v_add3_u32 v2, v4, v2, v7
	v_mul_lo_u32 v0, v5, s22
	v_mul_hi_u32 v4, s26, v5
	v_sub_u32_e32 v0, v3, v0
	v_add_u32_e32 v3, v5, v4
	v_mul_lo_u32 v4, v0, s12
	v_mul_lo_u32 v7, v0, s13
	v_lshrrev_b32_e32 v0, s27, v3
	s_add_i32 s7, s7, 4
	v_mul_lo_u32 v3, v0, s25
	s_add_u32 s28, s28, 32
	v_sub_u32_e32 v3, v5, v3
	s_addc_u32 s29, s29, 0
	v_mul_lo_u32 v5, v3, s14
	v_mul_lo_u32 v3, v3, s15
	s_cmp_lg_u32 s6, s7
	v_add3_u32 v2, v7, v2, v3
	v_add3_u32 v54, v4, v1, v5
	s_cbranch_scc1 .LBB11_575
; %bb.576:
	v_mov_b32_e32 v55, v2
	s_and_b32 s10, s34, 3
	s_cmp_eq_u32 s10, 0
	s_cbranch_scc0 .LBB11_580
.LBB11_577:
	s_cbranch_execz .LBB11_583
	s_branch .LBB11_585
.LBB11_578:
                                        ; implicit-def: $vgpr2
                                        ; implicit-def: $vgpr54
	s_branch .LBB11_583
.LBB11_579:
	s_mov_b32 s7, s6
	v_pk_mov_b32 v[54:55], s[6:7], s[6:7] op_sel:[0,1]
                                        ; implicit-def: $vgpr2
	v_mov_b32_e32 v0, v40
	s_and_b32 s10, s34, 3
	s_cmp_eq_u32 s10, 0
	s_cbranch_scc1 .LBB11_577
.LBB11_580:
	s_lshl_b32 s7, s6, 3
	s_add_u32 s7, s7, s38
	s_addc_u32 s9, 0, s39
	s_add_u32 s8, s7, 0xc4
	s_addc_u32 s9, s9, 0
	s_mul_i32 s6, s6, 12
	s_add_u32 s6, s38, s6
	s_addc_u32 s7, 0, s39
.LBB11_581:                             ; =>This Inner Loop Header: Depth=1
	s_load_dwordx2 s[12:13], s[6:7], 0x4
	s_load_dword s11, s[6:7], 0xc
	s_load_dwordx2 s[14:15], s[8:9], 0x0
	s_add_u32 s6, s6, 12
	s_addc_u32 s7, s7, 0
	s_waitcnt lgkmcnt(0)
	v_mul_hi_u32 v1, s13, v0
	v_add_u32_e32 v1, v0, v1
	v_lshrrev_b32_e32 v1, s11, v1
	v_mul_lo_u32 v3, v1, s12
	v_mov_b32_e32 v2, v55
	s_add_u32 s8, s8, 8
	v_sub_u32_e32 v4, v0, v3
	s_addc_u32 s9, s9, 0
	s_add_i32 s10, s10, -1
	v_mad_u64_u32 v[2:3], s[12:13], v4, s15, v[2:3]
	v_mad_u64_u32 v[54:55], s[12:13], v4, s14, v[54:55]
	s_cmp_lg_u32 s10, 0
	v_mov_b32_e32 v0, v1
	v_mov_b32_e32 v55, v2
	s_cbranch_scc1 .LBB11_581
; %bb.582:
	v_mov_b32_e32 v2, v55
	s_cbranch_execnz .LBB11_585
.LBB11_583:
	s_load_dwordx4 s[8:11], s[38:39], 0x4
	s_load_dwordx2 s[6:7], s[38:39], 0xc4
	s_cmp_lt_u32 s33, 2
	s_waitcnt lgkmcnt(0)
	v_mul_hi_u32 v0, s9, v40
	v_add_u32_e32 v0, v40, v0
	v_lshrrev_b32_e32 v0, s10, v0
	v_mul_lo_u32 v1, v0, s8
	v_sub_u32_e32 v1, v40, v1
	v_mul_lo_u32 v2, v1, s7
	v_mul_lo_u32 v54, v1, s6
	s_cbranch_scc1 .LBB11_585
; %bb.584:
	s_load_dwordx4 s[8:11], s[38:39], 0x10
	s_load_dwordx2 s[6:7], s[38:39], 0xcc
	s_waitcnt lgkmcnt(0)
	v_mul_hi_u32 v1, s9, v0
	v_add_u32_e32 v1, v0, v1
	v_lshrrev_b32_e32 v1, s10, v1
	v_mul_lo_u32 v1, v1, s8
	v_sub_u32_e32 v0, v0, v1
	v_mad_u64_u32 v[54:55], s[8:9], v0, s6, v[54:55]
	v_mad_u64_u32 v[2:3], s[6:7], v0, s7, v[2:3]
.LBB11_585:
	s_and_b64 vcc, exec, s[4:5]
	v_add_u32_e32 v0, 0x80, v40
	s_cbranch_vccnz .LBB11_592
; %bb.586:
	s_mov_b32 s6, 0
	s_cmp_lg_u32 s33, 0
	v_mov_b32_e32 v38, 0
	v_mov_b32_e32 v52, 0
	s_cbranch_scc0 .LBB11_591
; %bb.587:
	s_min_u32 s34, s80, 15
	s_add_i32 s34, s34, 1
	s_cmp_eq_u32 s80, 2
	s_cbranch_scc1 .LBB11_593
; %bb.588:
	s_add_u32 s28, s38, 0xc4
	s_addc_u32 s29, s39, 0
	s_and_b32 s6, s34, 28
	s_mov_b32 s7, 0
	v_mov_b32_e32 v52, 0
	s_mov_b64 s[30:31], s[38:39]
	v_mov_b32_e32 v1, v0
	v_mov_b32_e32 v38, 0
.LBB11_589:                             ; =>This Inner Loop Header: Depth=1
	s_load_dwordx8 s[16:23], s[30:31], 0x4
	s_load_dwordx4 s[24:27], s[30:31], 0x24
	s_load_dwordx8 s[8:15], s[28:29], 0x0
	s_add_u32 s30, s30, 48
	s_addc_u32 s31, s31, 0
	s_waitcnt lgkmcnt(0)
	v_mul_hi_u32 v3, s17, v1
	v_add_u32_e32 v3, v1, v3
	v_lshrrev_b32_e32 v3, s18, v3
	v_mul_lo_u32 v4, v3, s16
	v_mul_hi_u32 v5, s20, v3
	v_sub_u32_e32 v1, v1, v4
	v_add_u32_e32 v4, v3, v5
	v_lshrrev_b32_e32 v4, s21, v4
	v_mul_lo_u32 v7, v4, s19
	v_mul_hi_u32 v8, s23, v4
	v_sub_u32_e32 v3, v3, v7
	v_add_u32_e32 v7, v4, v8
	v_mul_lo_u32 v5, v1, s9
	v_mul_lo_u32 v1, v1, s8
	;; [unrolled: 1-line block ×4, first 2 shown]
	v_lshrrev_b32_e32 v7, s24, v7
	v_add3_u32 v3, v1, v52, v3
	v_add3_u32 v5, v5, v38, v8
	v_mul_lo_u32 v1, v7, s22
	v_mul_hi_u32 v8, s26, v7
	v_sub_u32_e32 v1, v4, v1
	v_add_u32_e32 v4, v7, v8
	v_mul_lo_u32 v8, v1, s12
	v_mul_lo_u32 v9, v1, s13
	v_lshrrev_b32_e32 v1, s27, v4
	s_add_i32 s7, s7, 4
	v_mul_lo_u32 v4, v1, s25
	s_add_u32 s28, s28, 32
	v_sub_u32_e32 v4, v7, v4
	s_addc_u32 s29, s29, 0
	v_mul_lo_u32 v7, v4, s14
	v_mul_lo_u32 v4, v4, s15
	s_cmp_lg_u32 s6, s7
	v_add3_u32 v38, v9, v5, v4
	v_add3_u32 v52, v8, v3, v7
	s_cbranch_scc1 .LBB11_589
; %bb.590:
	v_mov_b32_e32 v53, v38
	s_and_b32 s10, s34, 3
	s_cmp_eq_u32 s10, 0
	s_cbranch_scc0 .LBB11_594
.LBB11_591:
	s_cbranch_execz .LBB11_597
	s_branch .LBB11_599
.LBB11_592:
                                        ; implicit-def: $vgpr38
                                        ; implicit-def: $vgpr52
	s_branch .LBB11_597
.LBB11_593:
	s_mov_b32 s7, s6
	v_pk_mov_b32 v[52:53], s[6:7], s[6:7] op_sel:[0,1]
                                        ; implicit-def: $vgpr38
	v_mov_b32_e32 v1, v0
	s_and_b32 s10, s34, 3
	s_cmp_eq_u32 s10, 0
	s_cbranch_scc1 .LBB11_591
.LBB11_594:
	s_lshl_b32 s7, s6, 3
	s_add_u32 s7, s7, s38
	s_addc_u32 s9, 0, s39
	s_add_u32 s8, s7, 0xc4
	s_addc_u32 s9, s9, 0
	s_mul_i32 s6, s6, 12
	s_add_u32 s6, s38, s6
	s_addc_u32 s7, 0, s39
.LBB11_595:                             ; =>This Inner Loop Header: Depth=1
	s_load_dwordx2 s[12:13], s[6:7], 0x4
	s_load_dword s11, s[6:7], 0xc
	s_load_dwordx2 s[14:15], s[8:9], 0x0
	s_add_u32 s6, s6, 12
	s_addc_u32 s7, s7, 0
	s_waitcnt lgkmcnt(0)
	v_mul_hi_u32 v3, s13, v1
	v_add_u32_e32 v3, v1, v3
	v_lshrrev_b32_e32 v3, s11, v3
	v_mul_lo_u32 v5, v3, s12
	v_mov_b32_e32 v4, v53
	s_add_u32 s8, s8, 8
	v_sub_u32_e32 v7, v1, v5
	s_addc_u32 s9, s9, 0
	s_add_i32 s10, s10, -1
	v_mad_u64_u32 v[4:5], s[12:13], v7, s15, v[4:5]
	v_mad_u64_u32 v[52:53], s[12:13], v7, s14, v[52:53]
	s_cmp_lg_u32 s10, 0
	v_mov_b32_e32 v1, v3
	v_mov_b32_e32 v53, v4
	s_cbranch_scc1 .LBB11_595
; %bb.596:
	v_mov_b32_e32 v38, v53
	s_cbranch_execnz .LBB11_599
.LBB11_597:
	s_load_dwordx4 s[8:11], s[38:39], 0x4
	s_load_dwordx2 s[6:7], s[38:39], 0xc4
	s_cmp_lt_u32 s33, 2
	s_waitcnt lgkmcnt(0)
	v_mul_hi_u32 v1, s9, v0
	v_add_u32_e32 v1, v0, v1
	v_lshrrev_b32_e32 v1, s10, v1
	v_mul_lo_u32 v3, v1, s8
	v_sub_u32_e32 v0, v0, v3
	v_mul_lo_u32 v38, v0, s7
	v_mul_lo_u32 v52, v0, s6
	s_cbranch_scc1 .LBB11_599
; %bb.598:
	s_load_dwordx4 s[8:11], s[38:39], 0x10
	s_load_dwordx2 s[6:7], s[38:39], 0xcc
	s_waitcnt lgkmcnt(0)
	v_mul_hi_u32 v0, s9, v1
	v_add_u32_e32 v0, v1, v0
	v_lshrrev_b32_e32 v0, s10, v0
	v_mul_lo_u32 v0, v0, s8
	v_sub_u32_e32 v0, v1, v0
	v_mad_u64_u32 v[52:53], s[8:9], v0, s6, v[52:53]
	v_mad_u64_u32 v[38:39], s[6:7], v0, s7, v[38:39]
.LBB11_599:
	s_and_b64 vcc, exec, s[4:5]
	v_add_u32_e32 v0, 0x100, v40
	s_cbranch_vccnz .LBB11_606
; %bb.600:
	s_mov_b32 s6, 0
	s_cmp_lg_u32 s33, 0
	v_mov_b32_e32 v44, 0
	v_mov_b32_e32 v50, 0
	s_cbranch_scc0 .LBB11_605
; %bb.601:
	s_min_u32 s34, s80, 15
	s_add_i32 s34, s34, 1
	s_cmp_eq_u32 s80, 2
	s_cbranch_scc1 .LBB11_607
; %bb.602:
	s_add_u32 s28, s38, 0xc4
	s_addc_u32 s29, s39, 0
	s_and_b32 s6, s34, 28
	s_mov_b32 s7, 0
	v_mov_b32_e32 v50, 0
	s_mov_b64 s[30:31], s[38:39]
	v_mov_b32_e32 v1, v0
	v_mov_b32_e32 v44, 0
.LBB11_603:                             ; =>This Inner Loop Header: Depth=1
	s_load_dwordx8 s[16:23], s[30:31], 0x4
	s_load_dwordx4 s[24:27], s[30:31], 0x24
	s_load_dwordx8 s[8:15], s[28:29], 0x0
	s_add_u32 s30, s30, 48
	s_addc_u32 s31, s31, 0
	s_waitcnt lgkmcnt(0)
	v_mul_hi_u32 v3, s17, v1
	v_add_u32_e32 v3, v1, v3
	v_lshrrev_b32_e32 v3, s18, v3
	v_mul_lo_u32 v4, v3, s16
	v_mul_hi_u32 v5, s20, v3
	v_sub_u32_e32 v1, v1, v4
	v_add_u32_e32 v4, v3, v5
	v_lshrrev_b32_e32 v4, s21, v4
	v_mul_lo_u32 v7, v4, s19
	v_mul_hi_u32 v8, s23, v4
	v_sub_u32_e32 v3, v3, v7
	v_add_u32_e32 v7, v4, v8
	v_mul_lo_u32 v5, v1, s9
	v_mul_lo_u32 v1, v1, s8
	;; [unrolled: 1-line block ×4, first 2 shown]
	v_lshrrev_b32_e32 v7, s24, v7
	v_add3_u32 v3, v1, v50, v3
	v_add3_u32 v5, v5, v44, v8
	v_mul_lo_u32 v1, v7, s22
	v_mul_hi_u32 v8, s26, v7
	v_sub_u32_e32 v1, v4, v1
	v_add_u32_e32 v4, v7, v8
	v_mul_lo_u32 v8, v1, s12
	v_mul_lo_u32 v9, v1, s13
	v_lshrrev_b32_e32 v1, s27, v4
	s_add_i32 s7, s7, 4
	v_mul_lo_u32 v4, v1, s25
	s_add_u32 s28, s28, 32
	v_sub_u32_e32 v4, v7, v4
	s_addc_u32 s29, s29, 0
	v_mul_lo_u32 v7, v4, s14
	v_mul_lo_u32 v4, v4, s15
	s_cmp_lg_u32 s6, s7
	v_add3_u32 v44, v9, v5, v4
	v_add3_u32 v50, v8, v3, v7
	s_cbranch_scc1 .LBB11_603
; %bb.604:
	v_mov_b32_e32 v51, v44
	s_and_b32 s10, s34, 3
	s_cmp_eq_u32 s10, 0
	s_cbranch_scc0 .LBB11_608
.LBB11_605:
	s_cbranch_execz .LBB11_611
	s_branch .LBB11_613
.LBB11_606:
                                        ; implicit-def: $vgpr44
                                        ; implicit-def: $vgpr50
	s_branch .LBB11_611
.LBB11_607:
	s_mov_b32 s7, s6
	v_pk_mov_b32 v[50:51], s[6:7], s[6:7] op_sel:[0,1]
                                        ; implicit-def: $vgpr44
	v_mov_b32_e32 v1, v0
	s_and_b32 s10, s34, 3
	s_cmp_eq_u32 s10, 0
	s_cbranch_scc1 .LBB11_605
.LBB11_608:
	s_lshl_b32 s7, s6, 3
	s_add_u32 s7, s7, s38
	s_addc_u32 s9, 0, s39
	s_add_u32 s8, s7, 0xc4
	s_addc_u32 s9, s9, 0
	s_mul_i32 s6, s6, 12
	s_add_u32 s6, s38, s6
	s_addc_u32 s7, 0, s39
.LBB11_609:                             ; =>This Inner Loop Header: Depth=1
	s_load_dwordx2 s[12:13], s[6:7], 0x4
	s_load_dword s11, s[6:7], 0xc
	s_load_dwordx2 s[14:15], s[8:9], 0x0
	s_add_u32 s6, s6, 12
	s_addc_u32 s7, s7, 0
	s_waitcnt lgkmcnt(0)
	v_mul_hi_u32 v3, s13, v1
	v_add_u32_e32 v3, v1, v3
	v_lshrrev_b32_e32 v3, s11, v3
	v_mul_lo_u32 v5, v3, s12
	v_mov_b32_e32 v4, v51
	s_add_u32 s8, s8, 8
	v_sub_u32_e32 v7, v1, v5
	s_addc_u32 s9, s9, 0
	s_add_i32 s10, s10, -1
	v_mad_u64_u32 v[4:5], s[12:13], v7, s15, v[4:5]
	v_mad_u64_u32 v[50:51], s[12:13], v7, s14, v[50:51]
	s_cmp_lg_u32 s10, 0
	v_mov_b32_e32 v1, v3
	v_mov_b32_e32 v51, v4
	s_cbranch_scc1 .LBB11_609
; %bb.610:
	v_mov_b32_e32 v44, v51
	s_cbranch_execnz .LBB11_613
.LBB11_611:
	s_load_dwordx4 s[8:11], s[38:39], 0x4
	s_load_dwordx2 s[6:7], s[38:39], 0xc4
	s_cmp_lt_u32 s33, 2
	s_waitcnt lgkmcnt(0)
	v_mul_hi_u32 v1, s9, v0
	v_add_u32_e32 v1, v0, v1
	v_lshrrev_b32_e32 v1, s10, v1
	v_mul_lo_u32 v3, v1, s8
	v_sub_u32_e32 v0, v0, v3
	v_mul_lo_u32 v44, v0, s7
	v_mul_lo_u32 v50, v0, s6
	s_cbranch_scc1 .LBB11_613
; %bb.612:
	s_load_dwordx4 s[8:11], s[38:39], 0x10
	s_load_dwordx2 s[6:7], s[38:39], 0xcc
	s_waitcnt lgkmcnt(0)
	v_mul_hi_u32 v0, s9, v1
	v_add_u32_e32 v0, v1, v0
	v_lshrrev_b32_e32 v0, s10, v0
	v_mul_lo_u32 v0, v0, s8
	v_sub_u32_e32 v0, v1, v0
	v_mad_u64_u32 v[50:51], s[8:9], v0, s6, v[50:51]
	v_mad_u64_u32 v[44:45], s[6:7], v0, s7, v[44:45]
.LBB11_613:
	s_and_b64 vcc, exec, s[4:5]
	s_cbranch_vccnz .LBB11_620
; %bb.614:
	s_mov_b32 s24, 0
	s_cmp_lg_u32 s33, 0
	v_mov_b32_e32 v46, 0
	v_mov_b32_e32 v48, 0
	s_cbranch_scc0 .LBB11_619
; %bb.615:
	s_min_u32 s30, s80, 15
	s_add_i32 s30, s30, 1
	s_cmp_eq_u32 s80, 2
	s_cbranch_scc1 .LBB11_621
; %bb.616:
	s_add_u32 s26, s38, 0xc4
	s_addc_u32 s27, s39, 0
	s_and_b32 s24, s30, 28
	s_mov_b32 s25, 0
	v_mov_b32_e32 v48, 0
	s_mov_b64 s[28:29], s[38:39]
	v_mov_b32_e32 v0, v6
	v_mov_b32_e32 v46, 0
.LBB11_617:                             ; =>This Inner Loop Header: Depth=1
	s_load_dwordx8 s[12:19], s[28:29], 0x4
	s_load_dwordx4 s[20:23], s[28:29], 0x24
	s_load_dwordx8 s[4:11], s[26:27], 0x0
	s_add_u32 s28, s28, 48
	s_addc_u32 s29, s29, 0
	s_waitcnt lgkmcnt(0)
	v_mul_hi_u32 v1, s13, v0
	v_add_u32_e32 v1, v0, v1
	v_lshrrev_b32_e32 v1, s14, v1
	v_mul_lo_u32 v3, v1, s12
	v_mul_hi_u32 v4, s16, v1
	v_sub_u32_e32 v0, v0, v3
	v_add_u32_e32 v3, v1, v4
	v_lshrrev_b32_e32 v3, s17, v3
	v_mul_lo_u32 v5, v3, s15
	v_mul_hi_u32 v7, s19, v3
	v_sub_u32_e32 v1, v1, v5
	v_add_u32_e32 v5, v3, v7
	v_mul_lo_u32 v4, v0, s5
	v_mul_lo_u32 v0, v0, s4
	;; [unrolled: 1-line block ×4, first 2 shown]
	v_lshrrev_b32_e32 v5, s20, v5
	v_add3_u32 v1, v0, v48, v1
	v_add3_u32 v4, v4, v46, v7
	v_mul_lo_u32 v0, v5, s18
	v_mul_hi_u32 v7, s22, v5
	v_sub_u32_e32 v0, v3, v0
	v_add_u32_e32 v3, v5, v7
	v_mul_lo_u32 v7, v0, s8
	v_mul_lo_u32 v8, v0, s9
	v_lshrrev_b32_e32 v0, s23, v3
	s_add_i32 s25, s25, 4
	v_mul_lo_u32 v3, v0, s21
	s_add_u32 s26, s26, 32
	v_sub_u32_e32 v3, v5, v3
	s_addc_u32 s27, s27, 0
	v_mul_lo_u32 v5, v3, s10
	v_mul_lo_u32 v3, v3, s11
	s_cmp_lg_u32 s24, s25
	v_add3_u32 v46, v8, v4, v3
	v_add3_u32 v48, v7, v1, v5
	s_cbranch_scc1 .LBB11_617
; %bb.618:
	v_mov_b32_e32 v49, v46
	s_and_b32 s8, s30, 3
	s_cmp_eq_u32 s8, 0
	s_cbranch_scc0 .LBB11_622
.LBB11_619:
	s_cbranch_execz .LBB11_625
	s_branch .LBB11_627
.LBB11_620:
                                        ; implicit-def: $vgpr46
                                        ; implicit-def: $vgpr48
	s_branch .LBB11_625
.LBB11_621:
	s_mov_b32 s25, s24
	v_pk_mov_b32 v[48:49], s[24:25], s[24:25] op_sel:[0,1]
                                        ; implicit-def: $vgpr46
	v_mov_b32_e32 v0, v6
	s_and_b32 s8, s30, 3
	s_cmp_eq_u32 s8, 0
	s_cbranch_scc1 .LBB11_619
.LBB11_622:
	s_lshl_b32 s4, s24, 3
	s_add_u32 s4, s4, s38
	s_addc_u32 s5, 0, s39
	s_add_u32 s4, s4, 0xc4
	s_addc_u32 s5, s5, 0
	s_mul_i32 s6, s24, 12
	s_add_u32 s6, s38, s6
	s_addc_u32 s7, 0, s39
.LBB11_623:                             ; =>This Inner Loop Header: Depth=1
	s_load_dwordx2 s[10:11], s[6:7], 0x4
	s_load_dword s9, s[6:7], 0xc
	s_load_dwordx2 s[12:13], s[4:5], 0x0
	s_add_u32 s6, s6, 12
	s_addc_u32 s7, s7, 0
	s_waitcnt lgkmcnt(0)
	v_mul_hi_u32 v1, s11, v0
	v_add_u32_e32 v1, v0, v1
	v_lshrrev_b32_e32 v1, s9, v1
	v_mul_lo_u32 v3, v1, s10
	v_mov_b32_e32 v4, v49
	s_add_u32 s4, s4, 8
	v_sub_u32_e32 v3, v0, v3
	s_addc_u32 s5, s5, 0
	s_add_i32 s8, s8, -1
	v_mad_u64_u32 v[4:5], s[10:11], v3, s13, v[4:5]
	v_mad_u64_u32 v[48:49], s[10:11], v3, s12, v[48:49]
	s_cmp_lg_u32 s8, 0
	v_mov_b32_e32 v0, v1
	v_mov_b32_e32 v49, v4
	s_cbranch_scc1 .LBB11_623
; %bb.624:
	v_mov_b32_e32 v46, v49
	s_cbranch_execnz .LBB11_627
.LBB11_625:
	s_load_dwordx4 s[4:7], s[38:39], 0x4
	s_load_dwordx2 s[8:9], s[38:39], 0xc4
	s_cmp_lt_u32 s33, 2
	s_waitcnt lgkmcnt(0)
	v_mul_hi_u32 v0, s5, v6
	v_add_u32_e32 v0, v6, v0
	v_lshrrev_b32_e32 v0, s6, v0
	v_mul_lo_u32 v1, v0, s4
	v_sub_u32_e32 v1, v6, v1
	v_mul_lo_u32 v46, v1, s9
	v_mul_lo_u32 v48, v1, s8
	s_cbranch_scc1 .LBB11_627
; %bb.626:
	s_load_dwordx4 s[4:7], s[38:39], 0x10
	s_load_dwordx2 s[8:9], s[38:39], 0xcc
	s_waitcnt lgkmcnt(0)
	v_mul_hi_u32 v1, s5, v0
	v_add_u32_e32 v1, v0, v1
	v_lshrrev_b32_e32 v1, s6, v1
	v_mul_lo_u32 v1, v1, s4
	v_sub_u32_e32 v0, v0, v1
	v_mad_u64_u32 v[48:49], s[4:5], v0, s8, v[48:49]
	v_mad_u64_u32 v[46:47], s[4:5], v0, s9, v[46:47]
.LBB11_627:
	s_load_dword s33, s[36:37], 0x160
	s_load_dwordx4 s[40:43], s[38:39], 0x148
	s_getpc_b64 s[36:37]
	s_add_u32 s36, s36, _ZN2at6native6invokeIZZZNS0_12_GLOBAL__N_121bessel_j0_kernel_cudaERNS_18TensorIteratorBaseEENKUlvE_clEvENKUlvE_clEvEUldE_j15function_traitsIS7_EEENT1_11result_typeERKT_PrKPcPKT0_PKN3c1010ScalarTypeEi@rel32@lo+4
	s_addc_u32 s37, s37, _ZN2at6native6invokeIZZZNS0_12_GLOBAL__N_121bessel_j0_kernel_cudaERNS_18TensorIteratorBaseEENKUlvE_clEvENKUlvE_clEvEUldE_j15function_traitsIS7_EEENT1_11result_typeERKT_PrKPcPKT0_PKN3c1010ScalarTypeEi@rel32@hi+12
	s_waitcnt lgkmcnt(0)
	s_lshr_b32 s38, s33, 16
	v_mov_b32_e32 v0, s42
	v_mov_b32_e32 v1, s43
	v_mov_b32_e32 v3, s38
	s_swappc_b64 s[30:31], s[36:37]
	v_mov_b32_e32 v42, v0
	v_mov_b32_e32 v43, v1
	v_mov_b32_e32 v0, s42
	v_mov_b32_e32 v1, s43
	v_mov_b32_e32 v2, v38
	v_mov_b32_e32 v3, s38
	s_swappc_b64 s[30:31], s[36:37]
	v_mov_b32_e32 v40, v0
	v_mov_b32_e32 v41, v1
	v_mov_b32_e32 v0, s42
	;; [unrolled: 7-line block ×3, first 2 shown]
	v_mov_b32_e32 v1, s43
	v_mov_b32_e32 v2, v46
	;; [unrolled: 1-line block ×3, first 2 shown]
	s_swappc_b64 s[30:31], s[36:37]
	v_mov_b32_e32 v3, s41
	v_add_co_u32_e32 v2, vcc, s40, v54
	s_lshr_b32 s16, s33, 8
	v_mov_b32_e32 v4, 11
	v_addc_co_u32_e32 v3, vcc, 0, v3, vcc
	v_cmp_lt_i16_sdwa s[4:5], s16, v4 src0_sel:BYTE_0 src1_sel:DWORD
	s_and_b64 vcc, exec, s[4:5]
	s_cbranch_vccnz .LBB11_634
; %bb.628:
	v_mov_b32_e32 v4, 25
	v_cmp_gt_i16_sdwa s[4:5], s16, v4 src0_sel:BYTE_0 src1_sel:DWORD
	s_mov_b64 s[6:7], -1
	s_mov_b64 s[8:9], 0
	s_and_b64 vcc, exec, s[4:5]
	s_mov_b64 s[10:11], 0
	s_mov_b64 s[4:5], 0
	s_cbranch_vccz .LBB11_664
; %bb.629:
	v_mov_b32_e32 v4, 28
	v_cmp_gt_i16_sdwa s[4:5], s16, v4 src0_sel:BYTE_0 src1_sel:DWORD
	s_and_b64 vcc, exec, s[4:5]
	s_cbranch_vccz .LBB11_636
; %bb.630:
	v_mov_b32_e32 v4, 43
	v_cmp_gt_i16_sdwa s[4:5], s16, v4 src0_sel:BYTE_0 src1_sel:DWORD
	s_and_b64 vcc, exec, s[4:5]
	;; [unrolled: 5-line block ×3, first 2 shown]
	s_cbranch_vccz .LBB11_638
; %bb.632:
	v_mov_b32_e32 v4, 46
	v_cmp_eq_u16_sdwa s[10:11], s16, v4 src0_sel:BYTE_0 src1_sel:DWORD
	s_mov_b64 s[4:5], -1
	s_mov_b64 s[6:7], 0
	s_and_b64 vcc, exec, s[10:11]
	s_mov_b64 s[10:11], 0
	s_cbranch_vccz .LBB11_639
; %bb.633:
	v_cvt_f32_f64_e32 v4, v[42:43]
	v_bfe_u32 v5, v4, 16, 1
	s_movk_i32 s4, 0x7fff
	v_add3_u32 v5, v4, v5, s4
	v_lshrrev_b32_e32 v5, 16, v5
	v_mov_b32_e32 v6, 0x7fc0
	v_cmp_o_f32_e32 vcc, v4, v4
	v_cndmask_b32_e32 v4, v6, v5, vcc
	global_store_dword v[2:3], v4, off
	s_mov_b64 s[4:5], 0
	s_mov_b64 s[10:11], -1
	s_branch .LBB11_639
.LBB11_634:
	s_mov_b64 s[10:11], 0
	s_mov_b64 s[6:7], s[44:45]
	s_cbranch_execnz .LBB11_708
.LBB11_635:
	s_andn2_b64 vcc, exec, s[10:11]
	s_cbranch_vccz .LBB11_746
	s_branch .LBB11_1075
.LBB11_636:
	s_mov_b64 s[4:5], 0
	s_and_b64 vcc, exec, s[6:7]
	s_cbranch_vccz .LBB11_663
	s_branch .LBB11_648
.LBB11_637:
	s_mov_b64 s[4:5], 0
	s_and_b64 vcc, exec, s[6:7]
	s_cbranch_vccnz .LBB11_645
	s_branch .LBB11_647
.LBB11_638:
	s_mov_b64 s[4:5], 0
.LBB11_639:
	s_and_b64 vcc, exec, s[6:7]
	s_cbranch_vccz .LBB11_644
; %bb.640:
	v_mov_b32_e32 v4, 44
	v_cmp_eq_u16_sdwa s[6:7], s16, v4 src0_sel:BYTE_0 src1_sel:DWORD
	s_mov_b64 s[4:5], -1
	s_and_b64 vcc, exec, s[6:7]
	s_cbranch_vccz .LBB11_644
; %bb.641:
	v_cvt_f32_f64_e32 v4, v[42:43]
	v_bfe_u32 v5, v4, 23, 8
	s_movk_i32 s4, 0xff
	v_cmp_ne_u32_e32 vcc, s4, v5
	v_mov_b32_e32 v6, 0xff
	s_and_saveexec_b64 s[6:7], vcc
; %bb.642:
	s_mov_b32 s4, 0x3fffff
	v_lshrrev_b32_e32 v6, 23, v4
	v_and_b32_e32 v7, 0x400000, v4
	v_and_or_b32 v4, v4, s4, v5
	v_cmp_ne_u32_e32 vcc, 0, v7
	v_cmp_ne_u32_e64 s[4:5], 0, v4
	s_and_b64 s[4:5], vcc, s[4:5]
	v_cndmask_b32_e64 v4, 0, 1, s[4:5]
	v_add_u32_e32 v6, v6, v4
; %bb.643:
	s_or_b64 exec, exec, s[6:7]
	s_mov_b64 s[4:5], 0
	s_mov_b64 s[10:11], -1
	global_store_byte v[2:3], v6, off
.LBB11_644:
	s_branch .LBB11_647
.LBB11_645:
	v_mov_b32_e32 v4, 29
	v_cmp_eq_u16_sdwa s[6:7], s16, v4 src0_sel:BYTE_0 src1_sel:DWORD
	s_mov_b64 s[4:5], -1
	s_and_b64 vcc, exec, s[6:7]
	s_cbranch_vccz .LBB11_647
; %bb.646:
	v_trunc_f64_e32 v[4:5], v[42:43]
	s_movk_i32 s4, 0xffe0
	v_ldexp_f64 v[6:7], v[4:5], s4
	v_floor_f64_e32 v[6:7], v[6:7]
	v_fmac_f64_e32 v[4:5], 0xc1f00000, v[6:7]
	v_cvt_u32_f64_e32 v9, v[6:7]
	v_cvt_u32_f64_e32 v8, v[4:5]
	global_store_dwordx2 v[2:3], v[8:9], off
	s_mov_b64 s[4:5], 0
	s_mov_b64 s[10:11], -1
.LBB11_647:
	s_branch .LBB11_663
.LBB11_648:
	v_mov_b32_e32 v4, 27
	v_cmp_lt_i16_sdwa s[10:11], s16, v4 src0_sel:BYTE_0 src1_sel:DWORD
	s_mov_b64 s[6:7], -1
	s_and_b64 vcc, exec, s[10:11]
	s_cbranch_vccnz .LBB11_654
; %bb.649:
	v_cmp_gt_i16_sdwa s[10:11], s16, v4 src0_sel:BYTE_0 src1_sel:DWORD
	s_and_b64 vcc, exec, s[10:11]
	s_cbranch_vccz .LBB11_651
; %bb.650:
	v_cvt_u32_f64_e32 v4, v[42:43]
	s_mov_b64 s[6:7], 0
	global_store_dword v[2:3], v4, off
.LBB11_651:
	s_andn2_b64 vcc, exec, s[6:7]
	s_cbranch_vccnz .LBB11_653
; %bb.652:
	v_cvt_u32_f64_e32 v4, v[42:43]
	global_store_short v[2:3], v4, off
.LBB11_653:
	s_mov_b64 s[6:7], 0
.LBB11_654:
	s_andn2_b64 vcc, exec, s[6:7]
	s_cbranch_vccnz .LBB11_662
; %bb.655:
	v_cvt_f32_f64_e32 v4, v[42:43]
	v_and_b32_e32 v5, 0x7fffffff, v4
	s_mov_b32 s6, 0x43800000
	v_cmp_gt_u32_e32 vcc, s6, v5
	v_mov_b32_e32 v6, 0x80
	s_and_saveexec_b64 s[6:7], vcc
	s_cbranch_execz .LBB11_661
; %bb.656:
	s_mov_b32 s10, 0x3bffffff
	v_cmp_lt_u32_e32 vcc, s10, v5
	s_mov_b64 s[10:11], 0
                                        ; implicit-def: $vgpr5
	s_and_saveexec_b64 s[12:13], vcc
	s_xor_b64 s[12:13], exec, s[12:13]
	s_cbranch_execz .LBB11_756
; %bb.657:
	v_bfe_u32 v5, v4, 20, 1
	s_mov_b32 s14, 0x487ffff
	v_add3_u32 v5, v4, v5, s14
	s_mov_b64 s[10:11], exec
	v_lshrrev_b32_e32 v5, 20, v5
	s_or_saveexec_b64 s[12:13], s[12:13]
                                        ; implicit-def: $sgpr14
	s_xor_b64 exec, exec, s[12:13]
	s_cbranch_execnz .LBB11_757
.LBB11_658:
	s_or_b64 exec, exec, s[12:13]
	v_mov_b32_e32 v6, s14
	s_and_saveexec_b64 s[12:13], s[10:11]
.LBB11_659:
	v_lshrrev_b32_e32 v4, 24, v4
	s_movk_i32 s10, 0x80
	v_and_or_b32 v6, v4, s10, v5
.LBB11_660:
	s_or_b64 exec, exec, s[12:13]
.LBB11_661:
	s_or_b64 exec, exec, s[6:7]
	global_store_byte v[2:3], v6, off
.LBB11_662:
	s_mov_b64 s[10:11], -1
.LBB11_663:
	s_mov_b64 s[6:7], 0
.LBB11_664:
	s_and_b64 vcc, exec, s[6:7]
	s_cbranch_vccz .LBB11_704
; %bb.665:
	v_mov_b32_e32 v4, 22
	v_cmp_gt_i16_sdwa s[8:9], s16, v4 src0_sel:BYTE_0 src1_sel:DWORD
	s_mov_b64 s[6:7], -1
	s_and_b64 vcc, exec, s[8:9]
	s_cbranch_vccz .LBB11_697
; %bb.666:
	v_mov_b32_e32 v4, 24
	v_cmp_lt_i16_sdwa s[8:9], s16, v4 src0_sel:BYTE_0 src1_sel:DWORD
	s_and_b64 vcc, exec, s[8:9]
	s_cbranch_vccnz .LBB11_686
; %bb.667:
	v_cmp_gt_i16_sdwa s[8:9], s16, v4 src0_sel:BYTE_0 src1_sel:DWORD
	s_and_b64 vcc, exec, s[8:9]
	s_cbranch_vccz .LBB11_675
; %bb.668:
	v_cvt_f32_f64_e32 v4, v[42:43]
	v_and_b32_e32 v5, 0x7fffffff, v4
	s_mov_b32 s6, 0x47800000
	v_cmp_gt_u32_e32 vcc, s6, v5
	v_mov_b32_e32 v6, 0x80
	s_and_saveexec_b64 s[6:7], vcc
	s_cbranch_execz .LBB11_674
; %bb.669:
	s_mov_b32 s8, 0x37ffffff
	v_cmp_lt_u32_e32 vcc, s8, v5
	s_mov_b64 s[8:9], 0
                                        ; implicit-def: $vgpr5
	s_and_saveexec_b64 s[10:11], vcc
	s_xor_b64 s[10:11], exec, s[10:11]
	s_cbranch_execz .LBB11_760
; %bb.670:
	v_bfe_u32 v5, v4, 21, 1
	s_mov_b32 s12, 0x88fffff
	v_add3_u32 v5, v4, v5, s12
	s_mov_b64 s[8:9], exec
	v_lshrrev_b32_e32 v5, 21, v5
	s_or_saveexec_b64 s[10:11], s[10:11]
                                        ; implicit-def: $sgpr12
	s_xor_b64 exec, exec, s[10:11]
	s_cbranch_execnz .LBB11_761
.LBB11_671:
	s_or_b64 exec, exec, s[10:11]
	v_mov_b32_e32 v6, s12
	s_and_saveexec_b64 s[10:11], s[8:9]
.LBB11_672:
	v_lshrrev_b32_e32 v4, 24, v4
	s_movk_i32 s8, 0x80
	v_and_or_b32 v6, v4, s8, v5
.LBB11_673:
	s_or_b64 exec, exec, s[10:11]
.LBB11_674:
	s_or_b64 exec, exec, s[6:7]
	s_mov_b64 s[6:7], 0
	global_store_byte v[2:3], v6, off
.LBB11_675:
	s_and_b64 vcc, exec, s[6:7]
	s_cbranch_vccz .LBB11_685
; %bb.676:
	v_cvt_f32_f64_e32 v4, v[42:43]
	v_and_b32_e32 v6, 0x7fffffff, v4
	s_mov_b32 s6, 0x43f00000
	v_cmp_gt_u32_e32 vcc, s6, v6
                                        ; implicit-def: $vgpr5
	s_and_saveexec_b64 s[6:7], vcc
	s_xor_b64 s[6:7], exec, s[6:7]
	s_cbranch_execz .LBB11_682
; %bb.677:
	s_mov_b32 s8, 0x3c7fffff
	v_cmp_lt_u32_e32 vcc, s8, v6
                                        ; implicit-def: $vgpr5
	s_and_saveexec_b64 s[8:9], vcc
	s_xor_b64 s[8:9], exec, s[8:9]
; %bb.678:
	v_bfe_u32 v5, v4, 20, 1
	s_mov_b32 s10, 0x407ffff
	v_add3_u32 v5, v4, v5, s10
	v_lshrrev_b32_e32 v6, 20, v5
	v_and_b32_e32 v5, 0xff00000, v5
	s_mov_b32 s10, 0x7f00000
	v_mov_b32_e32 v7, 0x7e
	v_cmp_ne_u32_e32 vcc, s10, v5
	v_cndmask_b32_e32 v5, v7, v6, vcc
; %bb.679:
	s_andn2_saveexec_b64 s[8:9], s[8:9]
; %bb.680:
	s_mov_b32 s10, 0x46800000
	v_add_f32_e64 v5, |v4|, s10
; %bb.681:
	s_or_b64 exec, exec, s[8:9]
                                        ; implicit-def: $vgpr6
.LBB11_682:
	s_andn2_saveexec_b64 s[6:7], s[6:7]
; %bb.683:
	s_mov_b32 s8, 0x7f800000
	v_mov_b32_e32 v5, 0x7e
	v_mov_b32_e32 v7, 0x7f
	v_cmp_lt_u32_e32 vcc, s8, v6
	v_cndmask_b32_e32 v5, v5, v7, vcc
; %bb.684:
	s_or_b64 exec, exec, s[6:7]
	v_lshrrev_b32_e32 v4, 24, v4
	s_movk_i32 s6, 0x80
	v_and_or_b32 v4, v4, s6, v5
	global_store_byte v[2:3], v4, off
.LBB11_685:
	s_mov_b64 s[6:7], 0
.LBB11_686:
	s_andn2_b64 vcc, exec, s[6:7]
	s_cbranch_vccnz .LBB11_696
; %bb.687:
	v_cvt_f32_f64_e32 v4, v[42:43]
	v_and_b32_e32 v6, 0x7fffffff, v4
	s_mov_b32 s6, 0x47800000
	v_cmp_gt_u32_e32 vcc, s6, v6
                                        ; implicit-def: $vgpr5
	s_and_saveexec_b64 s[6:7], vcc
	s_xor_b64 s[6:7], exec, s[6:7]
	s_cbranch_execz .LBB11_693
; %bb.688:
	s_mov_b32 s8, 0x387fffff
	v_cmp_lt_u32_e32 vcc, s8, v6
                                        ; implicit-def: $vgpr5
	s_and_saveexec_b64 s[8:9], vcc
	s_xor_b64 s[8:9], exec, s[8:9]
; %bb.689:
	v_bfe_u32 v5, v4, 21, 1
	s_mov_b32 s10, 0x80fffff
	v_add3_u32 v5, v4, v5, s10
	v_lshrrev_b32_e32 v5, 21, v5
; %bb.690:
	s_andn2_saveexec_b64 s[8:9], s[8:9]
; %bb.691:
	s_mov_b32 s10, 0x43000000
	v_add_f32_e64 v5, |v4|, s10
; %bb.692:
	s_or_b64 exec, exec, s[8:9]
                                        ; implicit-def: $vgpr6
.LBB11_693:
	s_andn2_saveexec_b64 s[6:7], s[6:7]
; %bb.694:
	s_mov_b32 s8, 0x7f800000
	v_mov_b32_e32 v5, 0x7c
	v_mov_b32_e32 v7, 0x7f
	v_cmp_lt_u32_e32 vcc, s8, v6
	v_cndmask_b32_e32 v5, v5, v7, vcc
; %bb.695:
	s_or_b64 exec, exec, s[6:7]
	v_lshrrev_b32_e32 v4, 24, v4
	s_movk_i32 s6, 0x80
	v_and_or_b32 v4, v4, s6, v5
	global_store_byte v[2:3], v4, off
.LBB11_696:
	s_mov_b64 s[6:7], 0
	s_mov_b64 s[10:11], -1
.LBB11_697:
	s_andn2_b64 vcc, exec, s[6:7]
	s_mov_b64 s[8:9], 0
	s_cbranch_vccnz .LBB11_704
; %bb.698:
	v_mov_b32_e32 v4, 14
	v_cmp_gt_i16_sdwa s[8:9], s16, v4 src0_sel:BYTE_0 src1_sel:DWORD
	s_mov_b64 s[6:7], -1
	s_and_b64 vcc, exec, s[8:9]
	s_cbranch_vccz .LBB11_702
; %bb.699:
	v_mov_b32_e32 v4, 15
	v_cmp_eq_u16_sdwa s[6:7], s16, v4 src0_sel:BYTE_0 src1_sel:DWORD
	s_mov_b64 s[4:5], -1
	s_and_b64 vcc, exec, s[6:7]
	s_cbranch_vccz .LBB11_701
; %bb.700:
	v_cvt_f32_f64_e32 v4, v[42:43]
	v_bfe_u32 v5, v4, 16, 1
	s_movk_i32 s4, 0x7fff
	v_add3_u32 v5, v4, v5, s4
	v_lshrrev_b32_e32 v5, 16, v5
	v_mov_b32_e32 v6, 0x7fc0
	v_cmp_o_f32_e32 vcc, v4, v4
	v_cndmask_b32_e32 v4, v6, v5, vcc
	global_store_short v[2:3], v4, off
	s_mov_b64 s[4:5], 0
	s_mov_b64 s[10:11], -1
.LBB11_701:
	s_mov_b64 s[6:7], 0
.LBB11_702:
	s_mov_b64 s[8:9], 0
	s_and_b64 vcc, exec, s[6:7]
	s_cbranch_vccz .LBB11_704
; %bb.703:
	v_mov_b32_e32 v4, 11
	v_cmp_ne_u16_sdwa s[4:5], s16, v4 src0_sel:BYTE_0 src1_sel:DWORD
	s_mov_b64 s[8:9], -1
.LBB11_704:
	s_and_b64 vcc, exec, s[4:5]
	s_mov_b64 s[6:7], s[44:45]
	s_cbranch_vccnz .LBB11_759
; %bb.705:
	s_andn2_b64 vcc, exec, s[8:9]
	s_cbranch_vccnz .LBB11_707
.LBB11_706:
	v_cmp_neq_f64_e32 vcc, 0, v[42:43]
	v_cndmask_b32_e64 v4, 0, 1, vcc
	global_store_byte v[2:3], v4, off
	s_mov_b64 s[10:11], -1
.LBB11_707:
	s_branch .LBB11_635
.LBB11_708:
	v_mov_b32_e32 v4, 5
	v_cmp_lt_i16_sdwa s[8:9], s16, v4 src0_sel:BYTE_0 src1_sel:DWORD
	s_mov_b64 s[4:5], -1
	s_and_b64 vcc, exec, s[8:9]
	s_cbranch_vccnz .LBB11_729
; %bb.709:
	v_mov_b32_e32 v4, 8
	v_cmp_lt_i16_sdwa s[8:9], s16, v4 src0_sel:BYTE_0 src1_sel:DWORD
	s_and_b64 vcc, exec, s[8:9]
	s_cbranch_vccnz .LBB11_719
; %bb.710:
	v_mov_b32_e32 v4, 9
	v_cmp_lt_i16_sdwa s[8:9], s16, v4 src0_sel:BYTE_0 src1_sel:DWORD
	s_and_b64 vcc, exec, s[8:9]
	s_cbranch_vccnz .LBB11_716
; %bb.711:
	v_cmp_gt_i16_sdwa s[8:9], s16, v4 src0_sel:BYTE_0 src1_sel:DWORD
	s_and_b64 vcc, exec, s[8:9]
	s_cbranch_vccz .LBB11_713
; %bb.712:
	v_mov_b32_e32 v44, 0
	v_mov_b32_e32 v45, v44
	global_store_dwordx4 v[2:3], v[42:45], off
	s_mov_b64 s[4:5], 0
.LBB11_713:
	s_andn2_b64 vcc, exec, s[4:5]
	s_cbranch_vccnz .LBB11_715
; %bb.714:
	v_cvt_f32_f64_e32 v4, v[42:43]
	v_mov_b32_e32 v5, 0
	global_store_dwordx2 v[2:3], v[4:5], off
.LBB11_715:
	s_mov_b64 s[4:5], 0
.LBB11_716:
	s_andn2_b64 vcc, exec, s[4:5]
	s_cbranch_vccnz .LBB11_718
; %bb.717:
	v_cvt_f32_f64_e32 v4, v[42:43]
	v_cvt_f16_f32_e32 v4, v4
	global_store_dword v[2:3], v4, off
.LBB11_718:
	s_mov_b64 s[4:5], 0
.LBB11_719:
	s_andn2_b64 vcc, exec, s[4:5]
	s_cbranch_vccnz .LBB11_728
; %bb.720:
	v_mov_b32_e32 v4, 6
	v_cmp_lt_i16_sdwa s[8:9], s16, v4 src0_sel:BYTE_0 src1_sel:DWORD
	s_mov_b64 s[4:5], -1
	s_and_b64 vcc, exec, s[8:9]
	s_cbranch_vccnz .LBB11_726
; %bb.721:
	v_cmp_gt_i16_sdwa s[8:9], s16, v4 src0_sel:BYTE_0 src1_sel:DWORD
	s_and_b64 vcc, exec, s[8:9]
	s_cbranch_vccz .LBB11_723
; %bb.722:
	global_store_dwordx2 v[2:3], v[42:43], off
	s_mov_b64 s[4:5], 0
.LBB11_723:
	s_andn2_b64 vcc, exec, s[4:5]
	s_cbranch_vccnz .LBB11_725
; %bb.724:
	v_cvt_f32_f64_e32 v4, v[42:43]
	global_store_dword v[2:3], v4, off
.LBB11_725:
	s_mov_b64 s[4:5], 0
.LBB11_726:
	s_andn2_b64 vcc, exec, s[4:5]
	s_cbranch_vccnz .LBB11_728
; %bb.727:
	v_cvt_f32_f64_e32 v4, v[42:43]
	v_cvt_f16_f32_e32 v4, v4
	global_store_short v[2:3], v4, off
.LBB11_728:
	s_mov_b64 s[4:5], 0
.LBB11_729:
	s_andn2_b64 vcc, exec, s[4:5]
	s_cbranch_vccnz .LBB11_745
; %bb.730:
	v_mov_b32_e32 v4, 2
	v_cmp_lt_i16_sdwa s[8:9], s16, v4 src0_sel:BYTE_0 src1_sel:DWORD
	s_mov_b64 s[4:5], -1
	s_and_b64 vcc, exec, s[8:9]
	s_cbranch_vccnz .LBB11_740
; %bb.731:
	v_mov_b32_e32 v4, 3
	v_cmp_lt_i16_sdwa s[8:9], s16, v4 src0_sel:BYTE_0 src1_sel:DWORD
	s_and_b64 vcc, exec, s[8:9]
	s_cbranch_vccnz .LBB11_737
; %bb.732:
	v_cmp_gt_i16_sdwa s[8:9], s16, v4 src0_sel:BYTE_0 src1_sel:DWORD
	s_and_b64 vcc, exec, s[8:9]
	s_cbranch_vccz .LBB11_734
; %bb.733:
	v_trunc_f64_e32 v[4:5], v[42:43]
	s_movk_i32 s4, 0xffe0
	v_ldexp_f64 v[6:7], v[4:5], s4
	v_floor_f64_e32 v[6:7], v[6:7]
	v_fmac_f64_e32 v[4:5], 0xc1f00000, v[6:7]
	v_cvt_i32_f64_e32 v9, v[6:7]
	v_cvt_u32_f64_e32 v8, v[4:5]
	global_store_dwordx2 v[2:3], v[8:9], off
	s_mov_b64 s[4:5], 0
.LBB11_734:
	s_andn2_b64 vcc, exec, s[4:5]
	s_cbranch_vccnz .LBB11_736
; %bb.735:
	v_cvt_i32_f64_e32 v4, v[42:43]
	global_store_dword v[2:3], v4, off
.LBB11_736:
	s_mov_b64 s[4:5], 0
.LBB11_737:
	s_andn2_b64 vcc, exec, s[4:5]
	s_cbranch_vccnz .LBB11_739
; %bb.738:
	v_cvt_i32_f64_e32 v4, v[42:43]
	global_store_short v[2:3], v4, off
.LBB11_739:
	s_mov_b64 s[4:5], 0
.LBB11_740:
	s_andn2_b64 vcc, exec, s[4:5]
	s_cbranch_vccnz .LBB11_745
; %bb.741:
	v_mov_b32_e32 v4, 0
	v_cmp_gt_i16_sdwa s[8:9], s16, v4 src0_sel:BYTE_0 src1_sel:DWORD
	s_mov_b64 s[4:5], -1
	s_and_b64 vcc, exec, s[8:9]
	s_cbranch_vccz .LBB11_743
; %bb.742:
	v_cvt_i32_f64_e32 v4, v[42:43]
	global_store_byte v[2:3], v4, off
	s_mov_b64 s[4:5], 0
.LBB11_743:
	s_andn2_b64 vcc, exec, s[4:5]
	s_cbranch_vccnz .LBB11_745
; %bb.744:
	v_trunc_f64_e32 v[4:5], v[42:43]
	s_movk_i32 s4, 0xffe0
	v_ldexp_f64 v[6:7], v[4:5], s4
	v_floor_f64_e32 v[6:7], v[6:7]
	v_fmac_f64_e32 v[4:5], 0xc1f00000, v[6:7]
	v_cvt_u32_f64_e32 v4, v[4:5]
	global_store_byte v[2:3], v4, off
.LBB11_745:
.LBB11_746:
	v_mov_b32_e32 v3, s41
	v_add_co_u32_e32 v2, vcc, s40, v52
	v_mov_b32_e32 v4, 11
	v_addc_co_u32_e32 v3, vcc, 0, v3, vcc
	v_cmp_lt_i16_sdwa s[4:5], s16, v4 src0_sel:BYTE_0 src1_sel:DWORD
	s_and_b64 vcc, exec, s[4:5]
	s_cbranch_vccnz .LBB11_753
; %bb.747:
	v_mov_b32_e32 v4, 25
	v_cmp_gt_i16_sdwa s[4:5], s16, v4 src0_sel:BYTE_0 src1_sel:DWORD
	s_mov_b64 s[12:13], -1
	s_mov_b64 s[8:9], 0
	s_and_b64 vcc, exec, s[4:5]
	s_mov_b64 s[10:11], 0
	s_mov_b64 s[4:5], 0
	s_cbranch_vccz .LBB11_790
; %bb.748:
	v_mov_b32_e32 v4, 28
	v_cmp_gt_i16_sdwa s[4:5], s16, v4 src0_sel:BYTE_0 src1_sel:DWORD
	s_and_b64 vcc, exec, s[4:5]
	s_cbranch_vccz .LBB11_755
; %bb.749:
	v_mov_b32_e32 v4, 43
	v_cmp_gt_i16_sdwa s[4:5], s16, v4 src0_sel:BYTE_0 src1_sel:DWORD
	s_and_b64 vcc, exec, s[4:5]
	;; [unrolled: 5-line block ×3, first 2 shown]
	s_cbranch_vccz .LBB11_762
; %bb.751:
	v_mov_b32_e32 v4, 46
	v_cmp_eq_u16_sdwa s[10:11], s16, v4 src0_sel:BYTE_0 src1_sel:DWORD
	s_mov_b64 s[4:5], -1
	s_mov_b64 s[12:13], 0
	s_and_b64 vcc, exec, s[10:11]
	s_mov_b64 s[10:11], 0
	s_cbranch_vccz .LBB11_763
; %bb.752:
	v_cvt_f32_f64_e32 v4, v[40:41]
	v_bfe_u32 v5, v4, 16, 1
	s_movk_i32 s4, 0x7fff
	v_add3_u32 v5, v4, v5, s4
	v_lshrrev_b32_e32 v5, 16, v5
	v_mov_b32_e32 v6, 0x7fc0
	v_cmp_o_f32_e32 vcc, v4, v4
	v_cndmask_b32_e32 v4, v6, v5, vcc
	global_store_dword v[2:3], v4, off
	s_mov_b64 s[4:5], 0
	s_mov_b64 s[10:11], -1
	s_branch .LBB11_763
.LBB11_753:
	s_mov_b64 s[10:11], 0
	s_cbranch_execnz .LBB11_834
.LBB11_754:
	s_andn2_b64 vcc, exec, s[10:11]
	s_cbranch_vccz .LBB11_872
	s_branch .LBB11_1075
.LBB11_755:
	s_mov_b64 s[4:5], 0
	s_branch .LBB11_773
.LBB11_756:
	s_or_saveexec_b64 s[12:13], s[12:13]
                                        ; implicit-def: $sgpr14
	s_xor_b64 exec, exec, s[12:13]
	s_cbranch_execz .LBB11_658
.LBB11_757:
	s_mov_b32 s14, 0x46000000
	v_add_f32_e64 v5, |v4|, s14
	v_and_b32_e32 v5, 0xff, v5
	v_cmp_ne_u32_e32 vcc, 0, v5
	s_andn2_b64 s[10:11], s[10:11], exec
	s_and_b64 s[18:19], vcc, exec
	s_mov_b32 s14, 0
	s_or_b64 s[10:11], s[10:11], s[18:19]
	s_or_b64 exec, exec, s[12:13]
	v_mov_b32_e32 v6, s14
	s_and_saveexec_b64 s[12:13], s[10:11]
	s_cbranch_execnz .LBB11_659
	s_branch .LBB11_660
.LBB11_758:
	s_mov_b64 s[4:5], 0
	s_branch .LBB11_769
.LBB11_759:
	s_or_b64 s[6:7], s[44:45], exec
	s_trap 2
	s_cbranch_execz .LBB11_706
	s_branch .LBB11_707
.LBB11_760:
	s_or_saveexec_b64 s[10:11], s[10:11]
                                        ; implicit-def: $sgpr12
	s_xor_b64 exec, exec, s[10:11]
	s_cbranch_execz .LBB11_671
.LBB11_761:
	s_mov_b32 s12, 0x42800000
	v_add_f32_e64 v5, |v4|, s12
	v_and_b32_e32 v5, 0xff, v5
	v_cmp_ne_u32_e32 vcc, 0, v5
	s_andn2_b64 s[8:9], s[8:9], exec
	s_and_b64 s[14:15], vcc, exec
	s_mov_b32 s12, 0
	s_or_b64 s[8:9], s[8:9], s[14:15]
	s_or_b64 exec, exec, s[10:11]
	v_mov_b32_e32 v6, s12
	s_and_saveexec_b64 s[10:11], s[8:9]
	s_cbranch_execnz .LBB11_672
	s_branch .LBB11_673
.LBB11_762:
	s_mov_b64 s[4:5], 0
.LBB11_763:
	s_and_b64 vcc, exec, s[12:13]
	s_cbranch_vccz .LBB11_768
; %bb.764:
	v_mov_b32_e32 v4, 44
	v_cmp_eq_u16_sdwa s[12:13], s16, v4 src0_sel:BYTE_0 src1_sel:DWORD
	s_mov_b64 s[4:5], -1
	s_and_b64 vcc, exec, s[12:13]
	s_cbranch_vccz .LBB11_768
; %bb.765:
	v_cvt_f32_f64_e32 v4, v[40:41]
	v_bfe_u32 v5, v4, 23, 8
	s_movk_i32 s4, 0xff
	v_cmp_ne_u32_e32 vcc, s4, v5
	v_mov_b32_e32 v6, 0xff
	s_and_saveexec_b64 s[10:11], vcc
; %bb.766:
	s_mov_b32 s4, 0x3fffff
	v_lshrrev_b32_e32 v6, 23, v4
	v_and_b32_e32 v7, 0x400000, v4
	v_and_or_b32 v4, v4, s4, v5
	v_cmp_ne_u32_e32 vcc, 0, v7
	v_cmp_ne_u32_e64 s[4:5], 0, v4
	s_and_b64 s[4:5], vcc, s[4:5]
	v_cndmask_b32_e64 v4, 0, 1, s[4:5]
	v_add_u32_e32 v6, v6, v4
; %bb.767:
	s_or_b64 exec, exec, s[10:11]
	s_mov_b64 s[4:5], 0
	s_mov_b64 s[10:11], -1
	global_store_byte v[2:3], v6, off
.LBB11_768:
	s_mov_b64 s[12:13], 0
.LBB11_769:
	s_and_b64 vcc, exec, s[12:13]
	s_cbranch_vccz .LBB11_772
; %bb.770:
	v_mov_b32_e32 v4, 29
	v_cmp_eq_u16_sdwa s[12:13], s16, v4 src0_sel:BYTE_0 src1_sel:DWORD
	s_mov_b64 s[4:5], -1
	s_and_b64 vcc, exec, s[12:13]
	s_cbranch_vccz .LBB11_772
; %bb.771:
	v_trunc_f64_e32 v[4:5], v[40:41]
	s_movk_i32 s4, 0xffe0
	v_ldexp_f64 v[6:7], v[4:5], s4
	v_floor_f64_e32 v[6:7], v[6:7]
	v_fmac_f64_e32 v[4:5], 0xc1f00000, v[6:7]
	v_cvt_u32_f64_e32 v9, v[6:7]
	v_cvt_u32_f64_e32 v8, v[4:5]
	global_store_dwordx2 v[2:3], v[8:9], off
	s_mov_b64 s[4:5], 0
	s_mov_b64 s[10:11], -1
.LBB11_772:
	s_mov_b64 s[12:13], 0
.LBB11_773:
	s_and_b64 vcc, exec, s[12:13]
	s_cbranch_vccz .LBB11_789
; %bb.774:
	v_mov_b32_e32 v4, 27
	v_cmp_lt_i16_sdwa s[12:13], s16, v4 src0_sel:BYTE_0 src1_sel:DWORD
	s_mov_b64 s[10:11], -1
	s_and_b64 vcc, exec, s[12:13]
	s_cbranch_vccnz .LBB11_780
; %bb.775:
	v_cmp_gt_i16_sdwa s[12:13], s16, v4 src0_sel:BYTE_0 src1_sel:DWORD
	s_and_b64 vcc, exec, s[12:13]
	s_cbranch_vccz .LBB11_777
; %bb.776:
	v_cvt_u32_f64_e32 v4, v[40:41]
	s_mov_b64 s[10:11], 0
	global_store_dword v[2:3], v4, off
.LBB11_777:
	s_andn2_b64 vcc, exec, s[10:11]
	s_cbranch_vccnz .LBB11_779
; %bb.778:
	v_cvt_u32_f64_e32 v4, v[40:41]
	global_store_short v[2:3], v4, off
.LBB11_779:
	s_mov_b64 s[10:11], 0
.LBB11_780:
	s_andn2_b64 vcc, exec, s[10:11]
	s_cbranch_vccnz .LBB11_788
; %bb.781:
	v_cvt_f32_f64_e32 v4, v[40:41]
	v_and_b32_e32 v5, 0x7fffffff, v4
	s_mov_b32 s10, 0x43800000
	v_cmp_gt_u32_e32 vcc, s10, v5
	v_mov_b32_e32 v6, 0x80
	s_and_saveexec_b64 s[10:11], vcc
	s_cbranch_execz .LBB11_787
; %bb.782:
	s_mov_b32 s12, 0x3bffffff
	v_cmp_lt_u32_e32 vcc, s12, v5
	s_mov_b64 s[12:13], 0
                                        ; implicit-def: $vgpr5
	s_and_saveexec_b64 s[14:15], vcc
	s_xor_b64 s[14:15], exec, s[14:15]
	s_cbranch_execz .LBB11_959
; %bb.783:
	v_bfe_u32 v5, v4, 20, 1
	s_mov_b32 s17, 0x487ffff
	v_add3_u32 v5, v4, v5, s17
	s_mov_b64 s[12:13], exec
	v_lshrrev_b32_e32 v5, 20, v5
	s_or_saveexec_b64 s[14:15], s[14:15]
                                        ; implicit-def: $sgpr17
	s_xor_b64 exec, exec, s[14:15]
	s_cbranch_execnz .LBB11_960
.LBB11_784:
	s_or_b64 exec, exec, s[14:15]
	v_mov_b32_e32 v6, s17
	s_and_saveexec_b64 s[14:15], s[12:13]
.LBB11_785:
	v_lshrrev_b32_e32 v4, 24, v4
	s_movk_i32 s12, 0x80
	v_and_or_b32 v6, v4, s12, v5
.LBB11_786:
	s_or_b64 exec, exec, s[14:15]
.LBB11_787:
	s_or_b64 exec, exec, s[10:11]
	global_store_byte v[2:3], v6, off
.LBB11_788:
	s_mov_b64 s[10:11], -1
.LBB11_789:
	s_mov_b64 s[12:13], 0
.LBB11_790:
	s_and_b64 vcc, exec, s[12:13]
	s_cbranch_vccz .LBB11_830
; %bb.791:
	v_mov_b32_e32 v4, 22
	v_cmp_gt_i16_sdwa s[12:13], s16, v4 src0_sel:BYTE_0 src1_sel:DWORD
	s_mov_b64 s[8:9], -1
	s_and_b64 vcc, exec, s[12:13]
	s_cbranch_vccz .LBB11_823
; %bb.792:
	v_mov_b32_e32 v4, 24
	v_cmp_lt_i16_sdwa s[10:11], s16, v4 src0_sel:BYTE_0 src1_sel:DWORD
	s_and_b64 vcc, exec, s[10:11]
	s_cbranch_vccnz .LBB11_812
; %bb.793:
	v_cmp_gt_i16_sdwa s[10:11], s16, v4 src0_sel:BYTE_0 src1_sel:DWORD
	s_and_b64 vcc, exec, s[10:11]
	s_cbranch_vccz .LBB11_801
; %bb.794:
	v_cvt_f32_f64_e32 v4, v[40:41]
	v_and_b32_e32 v5, 0x7fffffff, v4
	s_mov_b32 s8, 0x47800000
	v_cmp_gt_u32_e32 vcc, s8, v5
	v_mov_b32_e32 v6, 0x80
	s_and_saveexec_b64 s[8:9], vcc
	s_cbranch_execz .LBB11_800
; %bb.795:
	s_mov_b32 s10, 0x37ffffff
	v_cmp_lt_u32_e32 vcc, s10, v5
	s_mov_b64 s[10:11], 0
                                        ; implicit-def: $vgpr5
	s_and_saveexec_b64 s[12:13], vcc
	s_xor_b64 s[12:13], exec, s[12:13]
	s_cbranch_execz .LBB11_963
; %bb.796:
	v_bfe_u32 v5, v4, 21, 1
	s_mov_b32 s14, 0x88fffff
	v_add3_u32 v5, v4, v5, s14
	s_mov_b64 s[10:11], exec
	v_lshrrev_b32_e32 v5, 21, v5
	s_or_saveexec_b64 s[12:13], s[12:13]
                                        ; implicit-def: $sgpr14
	s_xor_b64 exec, exec, s[12:13]
	s_cbranch_execnz .LBB11_964
.LBB11_797:
	s_or_b64 exec, exec, s[12:13]
	v_mov_b32_e32 v6, s14
	s_and_saveexec_b64 s[12:13], s[10:11]
.LBB11_798:
	v_lshrrev_b32_e32 v4, 24, v4
	s_movk_i32 s10, 0x80
	v_and_or_b32 v6, v4, s10, v5
.LBB11_799:
	s_or_b64 exec, exec, s[12:13]
.LBB11_800:
	s_or_b64 exec, exec, s[8:9]
	s_mov_b64 s[8:9], 0
	global_store_byte v[2:3], v6, off
.LBB11_801:
	s_and_b64 vcc, exec, s[8:9]
	s_cbranch_vccz .LBB11_811
; %bb.802:
	v_cvt_f32_f64_e32 v4, v[40:41]
	v_and_b32_e32 v6, 0x7fffffff, v4
	s_mov_b32 s8, 0x43f00000
	v_cmp_gt_u32_e32 vcc, s8, v6
                                        ; implicit-def: $vgpr5
	s_and_saveexec_b64 s[8:9], vcc
	s_xor_b64 s[8:9], exec, s[8:9]
	s_cbranch_execz .LBB11_808
; %bb.803:
	s_mov_b32 s10, 0x3c7fffff
	v_cmp_lt_u32_e32 vcc, s10, v6
                                        ; implicit-def: $vgpr5
	s_and_saveexec_b64 s[10:11], vcc
	s_xor_b64 s[10:11], exec, s[10:11]
; %bb.804:
	v_bfe_u32 v5, v4, 20, 1
	s_mov_b32 s12, 0x407ffff
	v_add3_u32 v5, v4, v5, s12
	v_lshrrev_b32_e32 v6, 20, v5
	v_and_b32_e32 v5, 0xff00000, v5
	s_mov_b32 s12, 0x7f00000
	v_mov_b32_e32 v7, 0x7e
	v_cmp_ne_u32_e32 vcc, s12, v5
	v_cndmask_b32_e32 v5, v7, v6, vcc
; %bb.805:
	s_andn2_saveexec_b64 s[10:11], s[10:11]
; %bb.806:
	s_mov_b32 s12, 0x46800000
	v_add_f32_e64 v5, |v4|, s12
; %bb.807:
	s_or_b64 exec, exec, s[10:11]
                                        ; implicit-def: $vgpr6
.LBB11_808:
	s_andn2_saveexec_b64 s[8:9], s[8:9]
; %bb.809:
	s_mov_b32 s10, 0x7f800000
	v_mov_b32_e32 v5, 0x7e
	v_mov_b32_e32 v7, 0x7f
	v_cmp_lt_u32_e32 vcc, s10, v6
	v_cndmask_b32_e32 v5, v5, v7, vcc
; %bb.810:
	s_or_b64 exec, exec, s[8:9]
	v_lshrrev_b32_e32 v4, 24, v4
	s_movk_i32 s8, 0x80
	v_and_or_b32 v4, v4, s8, v5
	global_store_byte v[2:3], v4, off
.LBB11_811:
	s_mov_b64 s[8:9], 0
.LBB11_812:
	s_andn2_b64 vcc, exec, s[8:9]
	s_cbranch_vccnz .LBB11_822
; %bb.813:
	v_cvt_f32_f64_e32 v4, v[40:41]
	v_and_b32_e32 v6, 0x7fffffff, v4
	s_mov_b32 s8, 0x47800000
	v_cmp_gt_u32_e32 vcc, s8, v6
                                        ; implicit-def: $vgpr5
	s_and_saveexec_b64 s[8:9], vcc
	s_xor_b64 s[8:9], exec, s[8:9]
	s_cbranch_execz .LBB11_819
; %bb.814:
	s_mov_b32 s10, 0x387fffff
	v_cmp_lt_u32_e32 vcc, s10, v6
                                        ; implicit-def: $vgpr5
	s_and_saveexec_b64 s[10:11], vcc
	s_xor_b64 s[10:11], exec, s[10:11]
; %bb.815:
	v_bfe_u32 v5, v4, 21, 1
	s_mov_b32 s12, 0x80fffff
	v_add3_u32 v5, v4, v5, s12
	v_lshrrev_b32_e32 v5, 21, v5
; %bb.816:
	s_andn2_saveexec_b64 s[10:11], s[10:11]
; %bb.817:
	s_mov_b32 s12, 0x43000000
	v_add_f32_e64 v5, |v4|, s12
; %bb.818:
	s_or_b64 exec, exec, s[10:11]
                                        ; implicit-def: $vgpr6
.LBB11_819:
	s_andn2_saveexec_b64 s[8:9], s[8:9]
; %bb.820:
	s_mov_b32 s10, 0x7f800000
	v_mov_b32_e32 v5, 0x7c
	v_mov_b32_e32 v7, 0x7f
	v_cmp_lt_u32_e32 vcc, s10, v6
	v_cndmask_b32_e32 v5, v5, v7, vcc
; %bb.821:
	s_or_b64 exec, exec, s[8:9]
	v_lshrrev_b32_e32 v4, 24, v4
	s_movk_i32 s8, 0x80
	v_and_or_b32 v4, v4, s8, v5
	global_store_byte v[2:3], v4, off
.LBB11_822:
	s_mov_b64 s[8:9], 0
	s_mov_b64 s[10:11], -1
.LBB11_823:
	s_andn2_b64 vcc, exec, s[8:9]
	s_mov_b64 s[8:9], 0
	s_cbranch_vccnz .LBB11_830
; %bb.824:
	v_mov_b32_e32 v4, 14
	v_cmp_gt_i16_sdwa s[8:9], s16, v4 src0_sel:BYTE_0 src1_sel:DWORD
	s_mov_b64 s[12:13], -1
	s_and_b64 vcc, exec, s[8:9]
	s_cbranch_vccz .LBB11_828
; %bb.825:
	v_mov_b32_e32 v4, 15
	v_cmp_eq_u16_sdwa s[8:9], s16, v4 src0_sel:BYTE_0 src1_sel:DWORD
	s_mov_b64 s[4:5], -1
	s_and_b64 vcc, exec, s[8:9]
	s_cbranch_vccz .LBB11_827
; %bb.826:
	v_cvt_f32_f64_e32 v4, v[40:41]
	v_bfe_u32 v5, v4, 16, 1
	s_movk_i32 s4, 0x7fff
	v_add3_u32 v5, v4, v5, s4
	v_lshrrev_b32_e32 v5, 16, v5
	v_mov_b32_e32 v6, 0x7fc0
	v_cmp_o_f32_e32 vcc, v4, v4
	v_cndmask_b32_e32 v4, v6, v5, vcc
	global_store_short v[2:3], v4, off
	s_mov_b64 s[4:5], 0
	s_mov_b64 s[10:11], -1
.LBB11_827:
	s_mov_b64 s[12:13], 0
.LBB11_828:
	s_mov_b64 s[8:9], 0
	s_and_b64 vcc, exec, s[12:13]
	s_cbranch_vccz .LBB11_830
; %bb.829:
	v_mov_b32_e32 v4, 11
	v_cmp_ne_u16_sdwa s[4:5], s16, v4 src0_sel:BYTE_0 src1_sel:DWORD
	s_mov_b64 s[8:9], -1
.LBB11_830:
	s_and_b64 vcc, exec, s[4:5]
	s_cbranch_vccnz .LBB11_962
; %bb.831:
	s_andn2_b64 vcc, exec, s[8:9]
	s_cbranch_vccnz .LBB11_833
.LBB11_832:
	v_cmp_neq_f64_e32 vcc, 0, v[40:41]
	v_cndmask_b32_e64 v4, 0, 1, vcc
	s_mov_b64 s[10:11], -1
	global_store_byte v[2:3], v4, off
.LBB11_833:
	s_branch .LBB11_754
.LBB11_834:
	v_mov_b32_e32 v4, 5
	v_cmp_lt_i16_sdwa s[8:9], s16, v4 src0_sel:BYTE_0 src1_sel:DWORD
	s_mov_b64 s[4:5], -1
	s_and_b64 vcc, exec, s[8:9]
	s_cbranch_vccnz .LBB11_855
; %bb.835:
	v_mov_b32_e32 v4, 8
	v_cmp_lt_i16_sdwa s[8:9], s16, v4 src0_sel:BYTE_0 src1_sel:DWORD
	s_and_b64 vcc, exec, s[8:9]
	s_cbranch_vccnz .LBB11_845
; %bb.836:
	v_mov_b32_e32 v4, 9
	v_cmp_lt_i16_sdwa s[8:9], s16, v4 src0_sel:BYTE_0 src1_sel:DWORD
	s_and_b64 vcc, exec, s[8:9]
	s_cbranch_vccnz .LBB11_842
; %bb.837:
	v_cmp_gt_i16_sdwa s[8:9], s16, v4 src0_sel:BYTE_0 src1_sel:DWORD
	s_and_b64 vcc, exec, s[8:9]
	s_cbranch_vccz .LBB11_839
; %bb.838:
	v_mov_b32_e32 v42, 0
	v_mov_b32_e32 v43, v42
	global_store_dwordx4 v[2:3], v[40:43], off
	s_mov_b64 s[4:5], 0
.LBB11_839:
	s_andn2_b64 vcc, exec, s[4:5]
	s_cbranch_vccnz .LBB11_841
; %bb.840:
	v_cvt_f32_f64_e32 v4, v[40:41]
	v_mov_b32_e32 v5, 0
	global_store_dwordx2 v[2:3], v[4:5], off
.LBB11_841:
	s_mov_b64 s[4:5], 0
.LBB11_842:
	s_andn2_b64 vcc, exec, s[4:5]
	s_cbranch_vccnz .LBB11_844
; %bb.843:
	v_cvt_f32_f64_e32 v4, v[40:41]
	v_cvt_f16_f32_e32 v4, v4
	global_store_dword v[2:3], v4, off
.LBB11_844:
	s_mov_b64 s[4:5], 0
.LBB11_845:
	s_andn2_b64 vcc, exec, s[4:5]
	s_cbranch_vccnz .LBB11_854
; %bb.846:
	v_mov_b32_e32 v4, 6
	v_cmp_lt_i16_sdwa s[8:9], s16, v4 src0_sel:BYTE_0 src1_sel:DWORD
	s_mov_b64 s[4:5], -1
	s_and_b64 vcc, exec, s[8:9]
	s_cbranch_vccnz .LBB11_852
; %bb.847:
	v_cmp_gt_i16_sdwa s[8:9], s16, v4 src0_sel:BYTE_0 src1_sel:DWORD
	s_and_b64 vcc, exec, s[8:9]
	s_cbranch_vccz .LBB11_849
; %bb.848:
	global_store_dwordx2 v[2:3], v[40:41], off
	s_mov_b64 s[4:5], 0
.LBB11_849:
	s_andn2_b64 vcc, exec, s[4:5]
	s_cbranch_vccnz .LBB11_851
; %bb.850:
	v_cvt_f32_f64_e32 v4, v[40:41]
	global_store_dword v[2:3], v4, off
.LBB11_851:
	s_mov_b64 s[4:5], 0
.LBB11_852:
	s_andn2_b64 vcc, exec, s[4:5]
	s_cbranch_vccnz .LBB11_854
; %bb.853:
	v_cvt_f32_f64_e32 v4, v[40:41]
	v_cvt_f16_f32_e32 v4, v4
	global_store_short v[2:3], v4, off
.LBB11_854:
	s_mov_b64 s[4:5], 0
.LBB11_855:
	s_andn2_b64 vcc, exec, s[4:5]
	s_cbranch_vccnz .LBB11_871
; %bb.856:
	v_mov_b32_e32 v4, 2
	v_cmp_lt_i16_sdwa s[8:9], s16, v4 src0_sel:BYTE_0 src1_sel:DWORD
	s_mov_b64 s[4:5], -1
	s_and_b64 vcc, exec, s[8:9]
	s_cbranch_vccnz .LBB11_866
; %bb.857:
	v_mov_b32_e32 v4, 3
	v_cmp_lt_i16_sdwa s[8:9], s16, v4 src0_sel:BYTE_0 src1_sel:DWORD
	s_and_b64 vcc, exec, s[8:9]
	s_cbranch_vccnz .LBB11_863
; %bb.858:
	v_cmp_gt_i16_sdwa s[8:9], s16, v4 src0_sel:BYTE_0 src1_sel:DWORD
	s_and_b64 vcc, exec, s[8:9]
	s_cbranch_vccz .LBB11_860
; %bb.859:
	v_trunc_f64_e32 v[4:5], v[40:41]
	s_movk_i32 s4, 0xffe0
	v_ldexp_f64 v[6:7], v[4:5], s4
	v_floor_f64_e32 v[6:7], v[6:7]
	v_fmac_f64_e32 v[4:5], 0xc1f00000, v[6:7]
	v_cvt_i32_f64_e32 v9, v[6:7]
	v_cvt_u32_f64_e32 v8, v[4:5]
	global_store_dwordx2 v[2:3], v[8:9], off
	s_mov_b64 s[4:5], 0
.LBB11_860:
	s_andn2_b64 vcc, exec, s[4:5]
	s_cbranch_vccnz .LBB11_862
; %bb.861:
	v_cvt_i32_f64_e32 v4, v[40:41]
	global_store_dword v[2:3], v4, off
.LBB11_862:
	s_mov_b64 s[4:5], 0
.LBB11_863:
	s_andn2_b64 vcc, exec, s[4:5]
	s_cbranch_vccnz .LBB11_865
; %bb.864:
	v_cvt_i32_f64_e32 v4, v[40:41]
	global_store_short v[2:3], v4, off
.LBB11_865:
	s_mov_b64 s[4:5], 0
.LBB11_866:
	s_andn2_b64 vcc, exec, s[4:5]
	s_cbranch_vccnz .LBB11_871
; %bb.867:
	v_mov_b32_e32 v4, 0
	v_cmp_gt_i16_sdwa s[8:9], s16, v4 src0_sel:BYTE_0 src1_sel:DWORD
	s_mov_b64 s[4:5], -1
	s_and_b64 vcc, exec, s[8:9]
	s_cbranch_vccz .LBB11_869
; %bb.868:
	v_cvt_i32_f64_e32 v4, v[40:41]
	global_store_byte v[2:3], v4, off
	s_mov_b64 s[4:5], 0
.LBB11_869:
	s_andn2_b64 vcc, exec, s[4:5]
	s_cbranch_vccnz .LBB11_871
; %bb.870:
	v_trunc_f64_e32 v[4:5], v[40:41]
	s_movk_i32 s4, 0xffe0
	v_ldexp_f64 v[6:7], v[4:5], s4
	v_floor_f64_e32 v[6:7], v[6:7]
	v_fmac_f64_e32 v[4:5], 0xc1f00000, v[6:7]
	v_cvt_u32_f64_e32 v4, v[4:5]
	global_store_byte v[2:3], v4, off
.LBB11_871:
.LBB11_872:
	v_mov_b32_e32 v3, s41
	v_add_co_u32_e32 v2, vcc, s40, v50
	v_mov_b32_e32 v4, 11
	v_addc_co_u32_e32 v3, vcc, 0, v3, vcc
	v_cmp_lt_i16_sdwa s[4:5], s16, v4 src0_sel:BYTE_0 src1_sel:DWORD
	s_and_b64 vcc, exec, s[4:5]
	s_cbranch_vccnz .LBB11_879
; %bb.873:
	v_mov_b32_e32 v4, 25
	v_cmp_gt_i16_sdwa s[4:5], s16, v4 src0_sel:BYTE_0 src1_sel:DWORD
	s_mov_b64 s[12:13], -1
	s_mov_b64 s[8:9], 0
	s_and_b64 vcc, exec, s[4:5]
	s_mov_b64 s[10:11], 0
	s_mov_b64 s[4:5], 0
	s_cbranch_vccz .LBB11_993
; %bb.874:
	v_mov_b32_e32 v4, 28
	v_cmp_gt_i16_sdwa s[4:5], s16, v4 src0_sel:BYTE_0 src1_sel:DWORD
	s_and_b64 vcc, exec, s[4:5]
	s_cbranch_vccz .LBB11_958
; %bb.875:
	v_mov_b32_e32 v4, 43
	v_cmp_gt_i16_sdwa s[4:5], s16, v4 src0_sel:BYTE_0 src1_sel:DWORD
	s_and_b64 vcc, exec, s[4:5]
	;; [unrolled: 5-line block ×3, first 2 shown]
	s_cbranch_vccz .LBB11_965
; %bb.877:
	v_mov_b32_e32 v4, 46
	v_cmp_eq_u16_sdwa s[10:11], s16, v4 src0_sel:BYTE_0 src1_sel:DWORD
	s_mov_b64 s[4:5], -1
	s_mov_b64 s[12:13], 0
	s_and_b64 vcc, exec, s[10:11]
	s_mov_b64 s[10:11], 0
	s_cbranch_vccz .LBB11_966
; %bb.878:
	v_cvt_f32_f64_e32 v4, v[38:39]
	v_bfe_u32 v5, v4, 16, 1
	s_movk_i32 s4, 0x7fff
	v_add3_u32 v5, v4, v5, s4
	v_lshrrev_b32_e32 v5, 16, v5
	v_mov_b32_e32 v6, 0x7fc0
	v_cmp_o_f32_e32 vcc, v4, v4
	v_cndmask_b32_e32 v4, v6, v5, vcc
	global_store_dword v[2:3], v4, off
	s_mov_b64 s[4:5], 0
	s_mov_b64 s[10:11], -1
	s_branch .LBB11_966
.LBB11_879:
	s_mov_b64 s[10:11], 0
	s_cbranch_execnz .LBB11_1037
.LBB11_880:
	s_andn2_b64 vcc, exec, s[10:11]
	s_cbranch_vccnz .LBB11_1075
.LBB11_881:
	v_mov_b32_e32 v2, s41
	v_add_co_u32_e32 v4, vcc, s40, v48
	v_addc_co_u32_e32 v5, vcc, 0, v2, vcc
	v_mov_b32_e32 v2, 0xff
	v_and_b32_e32 v7, s16, v2
	v_cmp_gt_i16_e32 vcc, 11, v7
	s_cbranch_vccnz .LBB11_957
; %bb.882:
	v_cmp_lt_i16_e32 vcc, 25, v7
	s_mov_b64 s[10:11], -1
	s_mov_b64 s[8:9], 0
	s_mov_b64 s[4:5], 0
	s_cbranch_vccz .LBB11_915
; %bb.883:
	v_cmp_lt_i16_e32 vcc, 28, v7
	s_cbranch_vccz .LBB11_899
; %bb.884:
	v_cmp_lt_i16_e32 vcc, 43, v7
	;; [unrolled: 3-line block ×3, first 2 shown]
	s_cbranch_vccz .LBB11_889
; %bb.886:
	v_cmp_eq_u16_e32 vcc, 46, v7
	s_mov_b64 s[4:5], -1
	s_cbranch_vccz .LBB11_888
; %bb.887:
	v_cvt_f32_f64_e32 v2, v[0:1]
	v_bfe_u32 v3, v2, 16, 1
	s_movk_i32 s4, 0x7fff
	v_add3_u32 v3, v2, v3, s4
	v_lshrrev_b32_e32 v3, 16, v3
	v_mov_b32_e32 v6, 0x7fc0
	v_cmp_o_f32_e32 vcc, v2, v2
	v_cndmask_b32_e32 v2, v6, v3, vcc
	global_store_dword v[4:5], v2, off
	s_mov_b64 s[4:5], 0
.LBB11_888:
	s_mov_b64 s[10:11], 0
.LBB11_889:
	s_and_b64 vcc, exec, s[10:11]
	s_cbranch_vccz .LBB11_894
; %bb.890:
	v_cmp_eq_u16_e32 vcc, 44, v7
	s_mov_b64 s[4:5], -1
	s_cbranch_vccz .LBB11_894
; %bb.891:
	v_cvt_f32_f64_e32 v2, v[0:1]
	v_bfe_u32 v3, v2, 23, 8
	s_movk_i32 s4, 0xff
	v_cmp_ne_u32_e32 vcc, s4, v3
	v_mov_b32_e32 v6, 0xff
	s_and_saveexec_b64 s[10:11], vcc
; %bb.892:
	s_mov_b32 s4, 0x3fffff
	v_lshrrev_b32_e32 v6, 23, v2
	v_and_b32_e32 v8, 0x400000, v2
	v_and_or_b32 v2, v2, s4, v3
	v_cmp_ne_u32_e32 vcc, 0, v8
	v_cmp_ne_u32_e64 s[4:5], 0, v2
	s_and_b64 s[4:5], vcc, s[4:5]
	v_cndmask_b32_e64 v2, 0, 1, s[4:5]
	v_add_u32_e32 v6, v6, v2
; %bb.893:
	s_or_b64 exec, exec, s[10:11]
	s_mov_b64 s[4:5], 0
	global_store_byte v[4:5], v6, off
.LBB11_894:
	s_mov_b64 s[10:11], 0
.LBB11_895:
	s_and_b64 vcc, exec, s[10:11]
	s_cbranch_vccz .LBB11_898
; %bb.896:
	v_cmp_eq_u16_e32 vcc, 29, v7
	s_mov_b64 s[4:5], -1
	s_cbranch_vccz .LBB11_898
; %bb.897:
	v_trunc_f64_e32 v[2:3], v[0:1]
	s_movk_i32 s4, 0xffe0
	v_ldexp_f64 v[8:9], v[2:3], s4
	v_floor_f64_e32 v[8:9], v[8:9]
	v_fmac_f64_e32 v[2:3], 0xc1f00000, v[8:9]
	v_cvt_u32_f64_e32 v11, v[8:9]
	v_cvt_u32_f64_e32 v10, v[2:3]
	global_store_dwordx2 v[4:5], v[10:11], off
	s_mov_b64 s[4:5], 0
.LBB11_898:
	s_mov_b64 s[10:11], 0
.LBB11_899:
	s_and_b64 vcc, exec, s[10:11]
	s_cbranch_vccz .LBB11_914
; %bb.900:
	v_cmp_gt_i16_e32 vcc, 27, v7
	s_mov_b64 s[10:11], -1
	s_cbranch_vccnz .LBB11_906
; %bb.901:
	v_cmp_lt_i16_e32 vcc, 27, v7
	v_cvt_u32_f64_e32 v2, v[0:1]
	s_cbranch_vccz .LBB11_903
; %bb.902:
	global_store_dword v[4:5], v2, off
	s_mov_b64 s[10:11], 0
.LBB11_903:
	s_andn2_b64 vcc, exec, s[10:11]
	s_cbranch_vccnz .LBB11_905
; %bb.904:
	global_store_short v[4:5], v2, off
.LBB11_905:
	s_mov_b64 s[10:11], 0
.LBB11_906:
	s_andn2_b64 vcc, exec, s[10:11]
	s_cbranch_vccnz .LBB11_914
; %bb.907:
	v_cvt_f32_f64_e32 v2, v[0:1]
	v_and_b32_e32 v3, 0x7fffffff, v2
	s_mov_b32 s10, 0x43800000
	v_cmp_gt_u32_e32 vcc, s10, v3
	v_mov_b32_e32 v6, 0x80
	s_and_saveexec_b64 s[10:11], vcc
	s_cbranch_execz .LBB11_913
; %bb.908:
	s_mov_b32 s12, 0x3bffffff
	v_cmp_lt_u32_e32 vcc, s12, v3
	s_mov_b64 s[12:13], 0
                                        ; implicit-def: $vgpr3
	s_and_saveexec_b64 s[14:15], vcc
	s_xor_b64 s[14:15], exec, s[14:15]
	s_cbranch_execz .LBB11_1125
; %bb.909:
	v_bfe_u32 v3, v2, 20, 1
	s_mov_b32 s16, 0x487ffff
	v_add3_u32 v3, v2, v3, s16
	s_mov_b64 s[12:13], exec
	v_lshrrev_b32_e32 v3, 20, v3
	s_or_saveexec_b64 s[14:15], s[14:15]
                                        ; implicit-def: $sgpr16
	s_xor_b64 exec, exec, s[14:15]
	s_cbranch_execnz .LBB11_1126
.LBB11_910:
	s_or_b64 exec, exec, s[14:15]
	v_mov_b32_e32 v6, s16
	s_and_saveexec_b64 s[14:15], s[12:13]
.LBB11_911:
	v_lshrrev_b32_e32 v2, 24, v2
	s_movk_i32 s12, 0x80
	v_and_or_b32 v6, v2, s12, v3
.LBB11_912:
	s_or_b64 exec, exec, s[14:15]
.LBB11_913:
	s_or_b64 exec, exec, s[10:11]
	global_store_byte v[4:5], v6, off
.LBB11_914:
	s_mov_b64 s[10:11], 0
.LBB11_915:
	s_and_b64 vcc, exec, s[10:11]
	s_cbranch_vccz .LBB11_955
; %bb.916:
	v_cmp_lt_i16_e32 vcc, 22, v7
	s_mov_b64 s[8:9], -1
	s_cbranch_vccz .LBB11_948
; %bb.917:
	v_cmp_gt_i16_e32 vcc, 24, v7
	s_cbranch_vccnz .LBB11_937
; %bb.918:
	v_cmp_lt_i16_e32 vcc, 24, v7
	s_cbranch_vccz .LBB11_926
; %bb.919:
	v_cvt_f32_f64_e32 v2, v[0:1]
	v_and_b32_e32 v3, 0x7fffffff, v2
	s_mov_b32 s8, 0x47800000
	v_cmp_gt_u32_e32 vcc, s8, v3
	v_mov_b32_e32 v6, 0x80
	s_and_saveexec_b64 s[8:9], vcc
	s_cbranch_execz .LBB11_925
; %bb.920:
	s_mov_b32 s10, 0x37ffffff
	v_cmp_lt_u32_e32 vcc, s10, v3
	s_mov_b64 s[10:11], 0
                                        ; implicit-def: $vgpr3
	s_and_saveexec_b64 s[12:13], vcc
	s_xor_b64 s[12:13], exec, s[12:13]
	s_cbranch_execz .LBB11_1134
; %bb.921:
	v_bfe_u32 v3, v2, 21, 1
	s_mov_b32 s14, 0x88fffff
	v_add3_u32 v3, v2, v3, s14
	s_mov_b64 s[10:11], exec
	v_lshrrev_b32_e32 v3, 21, v3
	s_or_saveexec_b64 s[12:13], s[12:13]
                                        ; implicit-def: $sgpr14
	s_xor_b64 exec, exec, s[12:13]
	s_cbranch_execnz .LBB11_1135
.LBB11_922:
	s_or_b64 exec, exec, s[12:13]
	v_mov_b32_e32 v6, s14
	s_and_saveexec_b64 s[12:13], s[10:11]
.LBB11_923:
	v_lshrrev_b32_e32 v2, 24, v2
	s_movk_i32 s10, 0x80
	v_and_or_b32 v6, v2, s10, v3
.LBB11_924:
	s_or_b64 exec, exec, s[12:13]
.LBB11_925:
	s_or_b64 exec, exec, s[8:9]
	s_mov_b64 s[8:9], 0
	global_store_byte v[4:5], v6, off
.LBB11_926:
	s_and_b64 vcc, exec, s[8:9]
	s_cbranch_vccz .LBB11_936
; %bb.927:
	v_cvt_f32_f64_e32 v2, v[0:1]
	v_and_b32_e32 v6, 0x7fffffff, v2
	s_mov_b32 s8, 0x43f00000
	v_cmp_gt_u32_e32 vcc, s8, v6
                                        ; implicit-def: $vgpr3
	s_and_saveexec_b64 s[8:9], vcc
	s_xor_b64 s[8:9], exec, s[8:9]
	s_cbranch_execz .LBB11_933
; %bb.928:
	s_mov_b32 s10, 0x3c7fffff
	v_cmp_lt_u32_e32 vcc, s10, v6
                                        ; implicit-def: $vgpr3
	s_and_saveexec_b64 s[10:11], vcc
	s_xor_b64 s[10:11], exec, s[10:11]
; %bb.929:
	v_bfe_u32 v3, v2, 20, 1
	s_mov_b32 s12, 0x407ffff
	v_add3_u32 v3, v2, v3, s12
	v_lshrrev_b32_e32 v6, 20, v3
	v_and_b32_e32 v3, 0xff00000, v3
	s_mov_b32 s12, 0x7f00000
	v_mov_b32_e32 v8, 0x7e
	v_cmp_ne_u32_e32 vcc, s12, v3
	v_cndmask_b32_e32 v3, v8, v6, vcc
; %bb.930:
	s_andn2_saveexec_b64 s[10:11], s[10:11]
; %bb.931:
	s_mov_b32 s12, 0x46800000
	v_add_f32_e64 v3, |v2|, s12
; %bb.932:
	s_or_b64 exec, exec, s[10:11]
                                        ; implicit-def: $vgpr6
.LBB11_933:
	s_andn2_saveexec_b64 s[8:9], s[8:9]
; %bb.934:
	s_mov_b32 s10, 0x7f800000
	v_mov_b32_e32 v3, 0x7e
	v_mov_b32_e32 v8, 0x7f
	v_cmp_lt_u32_e32 vcc, s10, v6
	v_cndmask_b32_e32 v3, v3, v8, vcc
; %bb.935:
	s_or_b64 exec, exec, s[8:9]
	v_lshrrev_b32_e32 v2, 24, v2
	s_movk_i32 s8, 0x80
	v_and_or_b32 v2, v2, s8, v3
	global_store_byte v[4:5], v2, off
.LBB11_936:
	s_mov_b64 s[8:9], 0
.LBB11_937:
	s_andn2_b64 vcc, exec, s[8:9]
	s_cbranch_vccnz .LBB11_947
; %bb.938:
	v_cvt_f32_f64_e32 v2, v[0:1]
	v_and_b32_e32 v6, 0x7fffffff, v2
	s_mov_b32 s8, 0x47800000
	v_cmp_gt_u32_e32 vcc, s8, v6
                                        ; implicit-def: $vgpr3
	s_and_saveexec_b64 s[8:9], vcc
	s_xor_b64 s[8:9], exec, s[8:9]
	s_cbranch_execz .LBB11_944
; %bb.939:
	s_mov_b32 s10, 0x387fffff
	v_cmp_lt_u32_e32 vcc, s10, v6
                                        ; implicit-def: $vgpr3
	s_and_saveexec_b64 s[10:11], vcc
	s_xor_b64 s[10:11], exec, s[10:11]
; %bb.940:
	v_bfe_u32 v3, v2, 21, 1
	s_mov_b32 s12, 0x80fffff
	v_add3_u32 v3, v2, v3, s12
	v_lshrrev_b32_e32 v3, 21, v3
; %bb.941:
	s_andn2_saveexec_b64 s[10:11], s[10:11]
; %bb.942:
	s_mov_b32 s12, 0x43000000
	v_add_f32_e64 v3, |v2|, s12
; %bb.943:
	s_or_b64 exec, exec, s[10:11]
                                        ; implicit-def: $vgpr6
.LBB11_944:
	s_andn2_saveexec_b64 s[8:9], s[8:9]
; %bb.945:
	s_mov_b32 s10, 0x7f800000
	v_mov_b32_e32 v3, 0x7c
	v_mov_b32_e32 v8, 0x7f
	v_cmp_lt_u32_e32 vcc, s10, v6
	v_cndmask_b32_e32 v3, v3, v8, vcc
; %bb.946:
	s_or_b64 exec, exec, s[8:9]
	v_lshrrev_b32_e32 v2, 24, v2
	s_movk_i32 s8, 0x80
	v_and_or_b32 v2, v2, s8, v3
	global_store_byte v[4:5], v2, off
.LBB11_947:
	s_mov_b64 s[8:9], 0
.LBB11_948:
	s_andn2_b64 vcc, exec, s[8:9]
	s_mov_b64 s[8:9], 0
	s_cbranch_vccnz .LBB11_955
; %bb.949:
	v_cmp_lt_i16_e32 vcc, 14, v7
	s_mov_b64 s[10:11], -1
	s_cbranch_vccz .LBB11_953
; %bb.950:
	v_cmp_eq_u16_e32 vcc, 15, v7
	s_mov_b64 s[4:5], -1
	s_cbranch_vccz .LBB11_952
; %bb.951:
	v_cvt_f32_f64_e32 v2, v[0:1]
	v_bfe_u32 v3, v2, 16, 1
	s_movk_i32 s4, 0x7fff
	v_add3_u32 v3, v2, v3, s4
	v_lshrrev_b32_e32 v3, 16, v3
	v_mov_b32_e32 v6, 0x7fc0
	v_cmp_o_f32_e32 vcc, v2, v2
	v_cndmask_b32_e32 v2, v6, v3, vcc
	global_store_short v[4:5], v2, off
	s_mov_b64 s[4:5], 0
.LBB11_952:
	s_mov_b64 s[10:11], 0
.LBB11_953:
	s_and_b64 vcc, exec, s[10:11]
	s_cbranch_vccz .LBB11_955
; %bb.954:
	v_cmp_ne_u16_e64 s[4:5], 11, v7
	s_mov_b64 s[8:9], -1
.LBB11_955:
	s_and_b64 vcc, exec, s[4:5]
	s_cbranch_vccnz .LBB11_1129
.LBB11_956:
	s_mov_b64 s[4:5], 0
	s_branch .LBB11_1076
.LBB11_957:
	s_mov_b64 s[8:9], 0
	s_mov_b64 s[4:5], -1
	s_branch .LBB11_1076
.LBB11_958:
	s_mov_b64 s[4:5], 0
	s_branch .LBB11_976
.LBB11_959:
	s_or_saveexec_b64 s[14:15], s[14:15]
                                        ; implicit-def: $sgpr17
	s_xor_b64 exec, exec, s[14:15]
	s_cbranch_execz .LBB11_784
.LBB11_960:
	s_mov_b32 s17, 0x46000000
	v_add_f32_e64 v5, |v4|, s17
	v_and_b32_e32 v5, 0xff, v5
	v_cmp_ne_u32_e32 vcc, 0, v5
	s_andn2_b64 s[12:13], s[12:13], exec
	s_and_b64 s[18:19], vcc, exec
	s_mov_b32 s17, 0
	s_or_b64 s[12:13], s[12:13], s[18:19]
	s_or_b64 exec, exec, s[14:15]
	v_mov_b32_e32 v6, s17
	s_and_saveexec_b64 s[14:15], s[12:13]
	s_cbranch_execnz .LBB11_785
	s_branch .LBB11_786
.LBB11_961:
	s_mov_b64 s[4:5], 0
	s_branch .LBB11_972
.LBB11_962:
	s_trap 2
	s_or_b64 s[6:7], s[6:7], exec
	s_cbranch_execz .LBB11_832
	s_branch .LBB11_833
.LBB11_963:
	s_or_saveexec_b64 s[12:13], s[12:13]
                                        ; implicit-def: $sgpr14
	s_xor_b64 exec, exec, s[12:13]
	s_cbranch_execz .LBB11_797
.LBB11_964:
	s_mov_b32 s14, 0x42800000
	v_add_f32_e64 v5, |v4|, s14
	v_and_b32_e32 v5, 0xff, v5
	v_cmp_ne_u32_e32 vcc, 0, v5
	s_andn2_b64 s[10:11], s[10:11], exec
	s_and_b64 s[18:19], vcc, exec
	s_mov_b32 s14, 0
	s_or_b64 s[10:11], s[10:11], s[18:19]
	s_or_b64 exec, exec, s[12:13]
	v_mov_b32_e32 v6, s14
	s_and_saveexec_b64 s[12:13], s[10:11]
	s_cbranch_execnz .LBB11_798
	s_branch .LBB11_799
.LBB11_965:
	s_mov_b64 s[4:5], 0
.LBB11_966:
	s_and_b64 vcc, exec, s[12:13]
	s_cbranch_vccz .LBB11_971
; %bb.967:
	v_mov_b32_e32 v4, 44
	v_cmp_eq_u16_sdwa s[12:13], s16, v4 src0_sel:BYTE_0 src1_sel:DWORD
	s_mov_b64 s[4:5], -1
	s_and_b64 vcc, exec, s[12:13]
	s_cbranch_vccz .LBB11_971
; %bb.968:
	v_cvt_f32_f64_e32 v4, v[38:39]
	v_bfe_u32 v5, v4, 23, 8
	s_movk_i32 s4, 0xff
	v_cmp_ne_u32_e32 vcc, s4, v5
	v_mov_b32_e32 v6, 0xff
	s_and_saveexec_b64 s[10:11], vcc
; %bb.969:
	s_mov_b32 s4, 0x3fffff
	v_lshrrev_b32_e32 v6, 23, v4
	v_and_b32_e32 v7, 0x400000, v4
	v_and_or_b32 v4, v4, s4, v5
	v_cmp_ne_u32_e32 vcc, 0, v7
	v_cmp_ne_u32_e64 s[4:5], 0, v4
	s_and_b64 s[4:5], vcc, s[4:5]
	v_cndmask_b32_e64 v4, 0, 1, s[4:5]
	v_add_u32_e32 v6, v6, v4
; %bb.970:
	s_or_b64 exec, exec, s[10:11]
	s_mov_b64 s[4:5], 0
	s_mov_b64 s[10:11], -1
	global_store_byte v[2:3], v6, off
.LBB11_971:
	s_mov_b64 s[12:13], 0
.LBB11_972:
	s_and_b64 vcc, exec, s[12:13]
	s_cbranch_vccz .LBB11_975
; %bb.973:
	v_mov_b32_e32 v4, 29
	v_cmp_eq_u16_sdwa s[12:13], s16, v4 src0_sel:BYTE_0 src1_sel:DWORD
	s_mov_b64 s[4:5], -1
	s_and_b64 vcc, exec, s[12:13]
	s_cbranch_vccz .LBB11_975
; %bb.974:
	v_trunc_f64_e32 v[4:5], v[38:39]
	s_movk_i32 s4, 0xffe0
	v_ldexp_f64 v[6:7], v[4:5], s4
	v_floor_f64_e32 v[6:7], v[6:7]
	v_fmac_f64_e32 v[4:5], 0xc1f00000, v[6:7]
	v_cvt_u32_f64_e32 v9, v[6:7]
	v_cvt_u32_f64_e32 v8, v[4:5]
	global_store_dwordx2 v[2:3], v[8:9], off
	s_mov_b64 s[4:5], 0
	s_mov_b64 s[10:11], -1
.LBB11_975:
	s_mov_b64 s[12:13], 0
.LBB11_976:
	s_and_b64 vcc, exec, s[12:13]
	s_cbranch_vccz .LBB11_992
; %bb.977:
	v_mov_b32_e32 v4, 27
	v_cmp_lt_i16_sdwa s[12:13], s16, v4 src0_sel:BYTE_0 src1_sel:DWORD
	s_mov_b64 s[10:11], -1
	s_and_b64 vcc, exec, s[12:13]
	s_cbranch_vccnz .LBB11_983
; %bb.978:
	v_cmp_gt_i16_sdwa s[12:13], s16, v4 src0_sel:BYTE_0 src1_sel:DWORD
	s_and_b64 vcc, exec, s[12:13]
	v_cvt_u32_f64_e32 v4, v[38:39]
	s_cbranch_vccz .LBB11_980
; %bb.979:
	s_mov_b64 s[10:11], 0
	global_store_dword v[2:3], v4, off
.LBB11_980:
	s_andn2_b64 vcc, exec, s[10:11]
	s_cbranch_vccnz .LBB11_982
; %bb.981:
	global_store_short v[2:3], v4, off
.LBB11_982:
	s_mov_b64 s[10:11], 0
.LBB11_983:
	s_andn2_b64 vcc, exec, s[10:11]
	s_cbranch_vccnz .LBB11_991
; %bb.984:
	v_cvt_f32_f64_e32 v4, v[38:39]
	v_and_b32_e32 v5, 0x7fffffff, v4
	s_mov_b32 s10, 0x43800000
	v_cmp_gt_u32_e32 vcc, s10, v5
	v_mov_b32_e32 v6, 0x80
	s_and_saveexec_b64 s[10:11], vcc
	s_cbranch_execz .LBB11_990
; %bb.985:
	s_mov_b32 s12, 0x3bffffff
	v_cmp_lt_u32_e32 vcc, s12, v5
	s_mov_b64 s[12:13], 0
                                        ; implicit-def: $vgpr5
	s_and_saveexec_b64 s[14:15], vcc
	s_xor_b64 s[14:15], exec, s[14:15]
	s_cbranch_execz .LBB11_1120
; %bb.986:
	v_bfe_u32 v5, v4, 20, 1
	s_mov_b32 s17, 0x487ffff
	v_add3_u32 v5, v4, v5, s17
	s_mov_b64 s[12:13], exec
	v_lshrrev_b32_e32 v5, 20, v5
	s_or_saveexec_b64 s[14:15], s[14:15]
                                        ; implicit-def: $sgpr17
	s_xor_b64 exec, exec, s[14:15]
	s_cbranch_execnz .LBB11_1121
.LBB11_987:
	s_or_b64 exec, exec, s[14:15]
	v_mov_b32_e32 v6, s17
	s_and_saveexec_b64 s[14:15], s[12:13]
.LBB11_988:
	v_lshrrev_b32_e32 v4, 24, v4
	s_movk_i32 s12, 0x80
	v_and_or_b32 v6, v4, s12, v5
.LBB11_989:
	s_or_b64 exec, exec, s[14:15]
.LBB11_990:
	s_or_b64 exec, exec, s[10:11]
	global_store_byte v[2:3], v6, off
.LBB11_991:
	s_mov_b64 s[10:11], -1
.LBB11_992:
	s_mov_b64 s[12:13], 0
.LBB11_993:
	s_and_b64 vcc, exec, s[12:13]
	s_cbranch_vccz .LBB11_1033
; %bb.994:
	v_mov_b32_e32 v4, 22
	v_cmp_gt_i16_sdwa s[12:13], s16, v4 src0_sel:BYTE_0 src1_sel:DWORD
	s_mov_b64 s[8:9], -1
	s_and_b64 vcc, exec, s[12:13]
	s_cbranch_vccz .LBB11_1026
; %bb.995:
	v_mov_b32_e32 v4, 24
	v_cmp_lt_i16_sdwa s[10:11], s16, v4 src0_sel:BYTE_0 src1_sel:DWORD
	s_and_b64 vcc, exec, s[10:11]
	s_cbranch_vccnz .LBB11_1015
; %bb.996:
	v_cmp_gt_i16_sdwa s[10:11], s16, v4 src0_sel:BYTE_0 src1_sel:DWORD
	s_and_b64 vcc, exec, s[10:11]
	s_cbranch_vccz .LBB11_1004
; %bb.997:
	v_cvt_f32_f64_e32 v4, v[38:39]
	v_and_b32_e32 v5, 0x7fffffff, v4
	s_mov_b32 s8, 0x47800000
	v_cmp_gt_u32_e32 vcc, s8, v5
	v_mov_b32_e32 v6, 0x80
	s_and_saveexec_b64 s[8:9], vcc
	s_cbranch_execz .LBB11_1003
; %bb.998:
	s_mov_b32 s10, 0x37ffffff
	v_cmp_lt_u32_e32 vcc, s10, v5
	s_mov_b64 s[10:11], 0
                                        ; implicit-def: $vgpr5
	s_and_saveexec_b64 s[12:13], vcc
	s_xor_b64 s[12:13], exec, s[12:13]
	s_cbranch_execz .LBB11_1127
; %bb.999:
	v_bfe_u32 v5, v4, 21, 1
	s_mov_b32 s14, 0x88fffff
	v_add3_u32 v5, v4, v5, s14
	s_mov_b64 s[10:11], exec
	v_lshrrev_b32_e32 v5, 21, v5
	s_or_saveexec_b64 s[12:13], s[12:13]
                                        ; implicit-def: $sgpr14
	s_xor_b64 exec, exec, s[12:13]
	s_cbranch_execnz .LBB11_1128
.LBB11_1000:
	s_or_b64 exec, exec, s[12:13]
	v_mov_b32_e32 v6, s14
	s_and_saveexec_b64 s[12:13], s[10:11]
.LBB11_1001:
	v_lshrrev_b32_e32 v4, 24, v4
	s_movk_i32 s10, 0x80
	v_and_or_b32 v6, v4, s10, v5
.LBB11_1002:
	s_or_b64 exec, exec, s[12:13]
.LBB11_1003:
	s_or_b64 exec, exec, s[8:9]
	s_mov_b64 s[8:9], 0
	global_store_byte v[2:3], v6, off
.LBB11_1004:
	s_and_b64 vcc, exec, s[8:9]
	s_cbranch_vccz .LBB11_1014
; %bb.1005:
	v_cvt_f32_f64_e32 v4, v[38:39]
	v_and_b32_e32 v6, 0x7fffffff, v4
	s_mov_b32 s8, 0x43f00000
	v_cmp_gt_u32_e32 vcc, s8, v6
                                        ; implicit-def: $vgpr5
	s_and_saveexec_b64 s[8:9], vcc
	s_xor_b64 s[8:9], exec, s[8:9]
	s_cbranch_execz .LBB11_1011
; %bb.1006:
	s_mov_b32 s10, 0x3c7fffff
	v_cmp_lt_u32_e32 vcc, s10, v6
                                        ; implicit-def: $vgpr5
	s_and_saveexec_b64 s[10:11], vcc
	s_xor_b64 s[10:11], exec, s[10:11]
; %bb.1007:
	v_bfe_u32 v5, v4, 20, 1
	s_mov_b32 s12, 0x407ffff
	v_add3_u32 v5, v4, v5, s12
	v_lshrrev_b32_e32 v6, 20, v5
	v_and_b32_e32 v5, 0xff00000, v5
	s_mov_b32 s12, 0x7f00000
	v_mov_b32_e32 v7, 0x7e
	v_cmp_ne_u32_e32 vcc, s12, v5
	v_cndmask_b32_e32 v5, v7, v6, vcc
; %bb.1008:
	s_andn2_saveexec_b64 s[10:11], s[10:11]
; %bb.1009:
	s_mov_b32 s12, 0x46800000
	v_add_f32_e64 v5, |v4|, s12
; %bb.1010:
	s_or_b64 exec, exec, s[10:11]
                                        ; implicit-def: $vgpr6
.LBB11_1011:
	s_andn2_saveexec_b64 s[8:9], s[8:9]
; %bb.1012:
	s_mov_b32 s10, 0x7f800000
	v_mov_b32_e32 v5, 0x7e
	v_mov_b32_e32 v7, 0x7f
	v_cmp_lt_u32_e32 vcc, s10, v6
	v_cndmask_b32_e32 v5, v5, v7, vcc
; %bb.1013:
	s_or_b64 exec, exec, s[8:9]
	v_lshrrev_b32_e32 v4, 24, v4
	s_movk_i32 s8, 0x80
	v_and_or_b32 v4, v4, s8, v5
	global_store_byte v[2:3], v4, off
.LBB11_1014:
	s_mov_b64 s[8:9], 0
.LBB11_1015:
	s_andn2_b64 vcc, exec, s[8:9]
	s_cbranch_vccnz .LBB11_1025
; %bb.1016:
	v_cvt_f32_f64_e32 v4, v[38:39]
	v_and_b32_e32 v6, 0x7fffffff, v4
	s_mov_b32 s8, 0x47800000
	v_cmp_gt_u32_e32 vcc, s8, v6
                                        ; implicit-def: $vgpr5
	s_and_saveexec_b64 s[8:9], vcc
	s_xor_b64 s[8:9], exec, s[8:9]
	s_cbranch_execz .LBB11_1022
; %bb.1017:
	s_mov_b32 s10, 0x387fffff
	v_cmp_lt_u32_e32 vcc, s10, v6
                                        ; implicit-def: $vgpr5
	s_and_saveexec_b64 s[10:11], vcc
	s_xor_b64 s[10:11], exec, s[10:11]
; %bb.1018:
	v_bfe_u32 v5, v4, 21, 1
	s_mov_b32 s12, 0x80fffff
	v_add3_u32 v5, v4, v5, s12
	v_lshrrev_b32_e32 v5, 21, v5
; %bb.1019:
	s_andn2_saveexec_b64 s[10:11], s[10:11]
; %bb.1020:
	s_mov_b32 s12, 0x43000000
	v_add_f32_e64 v5, |v4|, s12
; %bb.1021:
	s_or_b64 exec, exec, s[10:11]
                                        ; implicit-def: $vgpr6
.LBB11_1022:
	s_andn2_saveexec_b64 s[8:9], s[8:9]
; %bb.1023:
	s_mov_b32 s10, 0x7f800000
	v_mov_b32_e32 v5, 0x7c
	v_mov_b32_e32 v7, 0x7f
	v_cmp_lt_u32_e32 vcc, s10, v6
	v_cndmask_b32_e32 v5, v5, v7, vcc
; %bb.1024:
	s_or_b64 exec, exec, s[8:9]
	v_lshrrev_b32_e32 v4, 24, v4
	s_movk_i32 s8, 0x80
	v_and_or_b32 v4, v4, s8, v5
	global_store_byte v[2:3], v4, off
.LBB11_1025:
	s_mov_b64 s[8:9], 0
	s_mov_b64 s[10:11], -1
.LBB11_1026:
	s_andn2_b64 vcc, exec, s[8:9]
	s_mov_b64 s[8:9], 0
	s_cbranch_vccnz .LBB11_1033
; %bb.1027:
	v_mov_b32_e32 v4, 14
	v_cmp_gt_i16_sdwa s[8:9], s16, v4 src0_sel:BYTE_0 src1_sel:DWORD
	s_mov_b64 s[12:13], -1
	s_and_b64 vcc, exec, s[8:9]
	s_cbranch_vccz .LBB11_1031
; %bb.1028:
	v_mov_b32_e32 v4, 15
	v_cmp_eq_u16_sdwa s[8:9], s16, v4 src0_sel:BYTE_0 src1_sel:DWORD
	s_mov_b64 s[4:5], -1
	s_and_b64 vcc, exec, s[8:9]
	s_cbranch_vccz .LBB11_1030
; %bb.1029:
	v_cvt_f32_f64_e32 v4, v[38:39]
	v_bfe_u32 v5, v4, 16, 1
	s_movk_i32 s4, 0x7fff
	v_add3_u32 v5, v4, v5, s4
	v_lshrrev_b32_e32 v5, 16, v5
	v_mov_b32_e32 v6, 0x7fc0
	v_cmp_o_f32_e32 vcc, v4, v4
	v_cndmask_b32_e32 v4, v6, v5, vcc
	global_store_short v[2:3], v4, off
	s_mov_b64 s[4:5], 0
	s_mov_b64 s[10:11], -1
.LBB11_1030:
	s_mov_b64 s[12:13], 0
.LBB11_1031:
	s_mov_b64 s[8:9], 0
	s_and_b64 vcc, exec, s[12:13]
	s_cbranch_vccz .LBB11_1033
; %bb.1032:
	v_mov_b32_e32 v4, 11
	v_cmp_ne_u16_sdwa s[4:5], s16, v4 src0_sel:BYTE_0 src1_sel:DWORD
	s_mov_b64 s[8:9], -1
.LBB11_1033:
	s_and_b64 vcc, exec, s[4:5]
	s_cbranch_vccnz .LBB11_1122
; %bb.1034:
	s_andn2_b64 vcc, exec, s[8:9]
	s_cbranch_vccnz .LBB11_1036
.LBB11_1035:
	v_cmp_neq_f64_e32 vcc, 0, v[38:39]
	v_cndmask_b32_e64 v4, 0, 1, vcc
	s_mov_b64 s[10:11], -1
	global_store_byte v[2:3], v4, off
.LBB11_1036:
	s_branch .LBB11_880
.LBB11_1037:
	v_mov_b32_e32 v4, 5
	v_cmp_lt_i16_sdwa s[8:9], s16, v4 src0_sel:BYTE_0 src1_sel:DWORD
	s_mov_b64 s[4:5], -1
	s_and_b64 vcc, exec, s[8:9]
	s_cbranch_vccnz .LBB11_1058
; %bb.1038:
	v_mov_b32_e32 v4, 8
	v_cmp_lt_i16_sdwa s[8:9], s16, v4 src0_sel:BYTE_0 src1_sel:DWORD
	s_and_b64 vcc, exec, s[8:9]
	s_cbranch_vccnz .LBB11_1048
; %bb.1039:
	v_mov_b32_e32 v4, 9
	v_cmp_lt_i16_sdwa s[8:9], s16, v4 src0_sel:BYTE_0 src1_sel:DWORD
	s_and_b64 vcc, exec, s[8:9]
	s_cbranch_vccnz .LBB11_1045
; %bb.1040:
	v_cmp_gt_i16_sdwa s[8:9], s16, v4 src0_sel:BYTE_0 src1_sel:DWORD
	s_and_b64 vcc, exec, s[8:9]
	s_cbranch_vccz .LBB11_1042
; %bb.1041:
	v_mov_b32_e32 v40, 0
	v_mov_b32_e32 v41, v40
	global_store_dwordx4 v[2:3], v[38:41], off
	s_mov_b64 s[4:5], 0
.LBB11_1042:
	s_andn2_b64 vcc, exec, s[4:5]
	s_cbranch_vccnz .LBB11_1044
; %bb.1043:
	v_cvt_f32_f64_e32 v4, v[38:39]
	v_mov_b32_e32 v5, 0
	global_store_dwordx2 v[2:3], v[4:5], off
.LBB11_1044:
	s_mov_b64 s[4:5], 0
.LBB11_1045:
	s_andn2_b64 vcc, exec, s[4:5]
	s_cbranch_vccnz .LBB11_1047
; %bb.1046:
	v_cvt_f32_f64_e32 v4, v[38:39]
	v_cvt_f16_f32_e32 v4, v4
	global_store_dword v[2:3], v4, off
.LBB11_1047:
	s_mov_b64 s[4:5], 0
.LBB11_1048:
	s_andn2_b64 vcc, exec, s[4:5]
	s_cbranch_vccnz .LBB11_1057
; %bb.1049:
	v_mov_b32_e32 v4, 6
	v_cmp_lt_i16_sdwa s[8:9], s16, v4 src0_sel:BYTE_0 src1_sel:DWORD
	s_mov_b64 s[4:5], -1
	s_and_b64 vcc, exec, s[8:9]
	s_cbranch_vccnz .LBB11_1055
; %bb.1050:
	v_cmp_gt_i16_sdwa s[8:9], s16, v4 src0_sel:BYTE_0 src1_sel:DWORD
	s_and_b64 vcc, exec, s[8:9]
	s_cbranch_vccz .LBB11_1052
; %bb.1051:
	global_store_dwordx2 v[2:3], v[38:39], off
	s_mov_b64 s[4:5], 0
.LBB11_1052:
	s_andn2_b64 vcc, exec, s[4:5]
	s_cbranch_vccnz .LBB11_1054
; %bb.1053:
	v_cvt_f32_f64_e32 v4, v[38:39]
	global_store_dword v[2:3], v4, off
.LBB11_1054:
	s_mov_b64 s[4:5], 0
.LBB11_1055:
	s_andn2_b64 vcc, exec, s[4:5]
	s_cbranch_vccnz .LBB11_1057
; %bb.1056:
	v_cvt_f32_f64_e32 v4, v[38:39]
	v_cvt_f16_f32_e32 v4, v4
	global_store_short v[2:3], v4, off
.LBB11_1057:
	s_mov_b64 s[4:5], 0
.LBB11_1058:
	s_andn2_b64 vcc, exec, s[4:5]
	s_cbranch_vccnz .LBB11_1074
; %bb.1059:
	v_mov_b32_e32 v4, 2
	v_cmp_lt_i16_sdwa s[8:9], s16, v4 src0_sel:BYTE_0 src1_sel:DWORD
	s_mov_b64 s[4:5], -1
	s_and_b64 vcc, exec, s[8:9]
	s_cbranch_vccnz .LBB11_1069
; %bb.1060:
	v_mov_b32_e32 v4, 3
	v_cmp_lt_i16_sdwa s[8:9], s16, v4 src0_sel:BYTE_0 src1_sel:DWORD
	s_and_b64 vcc, exec, s[8:9]
	s_cbranch_vccnz .LBB11_1066
; %bb.1061:
	v_cmp_gt_i16_sdwa s[8:9], s16, v4 src0_sel:BYTE_0 src1_sel:DWORD
	s_and_b64 vcc, exec, s[8:9]
	s_cbranch_vccz .LBB11_1063
; %bb.1062:
	v_trunc_f64_e32 v[4:5], v[38:39]
	s_movk_i32 s4, 0xffe0
	v_ldexp_f64 v[6:7], v[4:5], s4
	v_floor_f64_e32 v[6:7], v[6:7]
	v_fmac_f64_e32 v[4:5], 0xc1f00000, v[6:7]
	v_cvt_i32_f64_e32 v9, v[6:7]
	v_cvt_u32_f64_e32 v8, v[4:5]
	global_store_dwordx2 v[2:3], v[8:9], off
	s_mov_b64 s[4:5], 0
.LBB11_1063:
	s_andn2_b64 vcc, exec, s[4:5]
	s_cbranch_vccnz .LBB11_1065
; %bb.1064:
	v_cvt_i32_f64_e32 v4, v[38:39]
	global_store_dword v[2:3], v4, off
.LBB11_1065:
	s_mov_b64 s[4:5], 0
.LBB11_1066:
	s_andn2_b64 vcc, exec, s[4:5]
	s_cbranch_vccnz .LBB11_1068
; %bb.1067:
	v_cvt_i32_f64_e32 v4, v[38:39]
	global_store_short v[2:3], v4, off
.LBB11_1068:
	s_mov_b64 s[4:5], 0
.LBB11_1069:
	s_andn2_b64 vcc, exec, s[4:5]
	s_cbranch_vccnz .LBB11_1074
; %bb.1070:
	v_mov_b32_e32 v4, 0
	v_cmp_gt_i16_sdwa s[8:9], s16, v4 src0_sel:BYTE_0 src1_sel:DWORD
	s_mov_b64 s[4:5], -1
	s_and_b64 vcc, exec, s[8:9]
	s_cbranch_vccz .LBB11_1072
; %bb.1071:
	v_cvt_i32_f64_e32 v4, v[38:39]
	global_store_byte v[2:3], v4, off
	s_mov_b64 s[4:5], 0
.LBB11_1072:
	s_andn2_b64 vcc, exec, s[4:5]
	s_cbranch_vccnz .LBB11_1074
; %bb.1073:
	v_trunc_f64_e32 v[4:5], v[38:39]
	s_movk_i32 s4, 0xffe0
	v_ldexp_f64 v[6:7], v[4:5], s4
	v_floor_f64_e32 v[6:7], v[6:7]
	v_fmac_f64_e32 v[4:5], 0xc1f00000, v[6:7]
	v_cvt_u32_f64_e32 v4, v[4:5]
	global_store_byte v[2:3], v4, off
.LBB11_1074:
	s_branch .LBB11_881
.LBB11_1075:
	s_mov_b64 s[4:5], 0
	s_mov_b64 s[8:9], 0
                                        ; implicit-def: $vgpr7
                                        ; implicit-def: $vgpr4_vgpr5
.LBB11_1076:
	s_and_b64 s[52:53], s[8:9], exec
	s_andn2_b64 s[8:9], s[44:45], exec
	s_and_b64 s[6:7], s[6:7], exec
	s_and_b64 s[4:5], s[4:5], exec
	s_or_b64 s[44:45], s[8:9], s[6:7]
.LBB11_1077:
	s_or_b64 exec, exec, s[46:47]
	s_and_saveexec_b64 s[6:7], s[44:45]
	s_cbranch_execz .LBB11_1080
; %bb.1078:
	; divergent unreachable
	s_or_b64 exec, exec, s[6:7]
	s_and_saveexec_b64 s[6:7], s[52:53]
	s_xor_b64 s[6:7], exec, s[6:7]
	s_cbranch_execnz .LBB11_1081
.LBB11_1079:
	s_or_b64 exec, exec, s[6:7]
	s_and_saveexec_b64 s[6:7], s[4:5]
	s_cbranch_execnz .LBB11_1082
	s_branch .LBB11_1119
.LBB11_1080:
	s_or_b64 exec, exec, s[6:7]
	s_and_saveexec_b64 s[6:7], s[52:53]
	s_xor_b64 s[6:7], exec, s[6:7]
	s_cbranch_execz .LBB11_1079
.LBB11_1081:
	v_cmp_neq_f64_e32 vcc, 0, v[0:1]
	v_cndmask_b32_e64 v2, 0, 1, vcc
	global_store_byte v[4:5], v2, off
	s_or_b64 exec, exec, s[6:7]
	s_and_saveexec_b64 s[6:7], s[4:5]
	s_cbranch_execz .LBB11_1119
.LBB11_1082:
	v_cmp_gt_i16_e32 vcc, 5, v7
	s_mov_b64 s[4:5], -1
	s_cbranch_vccnz .LBB11_1103
; %bb.1083:
	v_cmp_gt_i16_e32 vcc, 8, v7
	s_cbranch_vccnz .LBB11_1093
; %bb.1084:
	v_cmp_gt_i16_e32 vcc, 9, v7
	s_cbranch_vccnz .LBB11_1090
; %bb.1085:
	v_cmp_lt_i16_e32 vcc, 9, v7
	s_cbranch_vccz .LBB11_1087
; %bb.1086:
	v_mov_b32_e32 v2, 0
	v_mov_b32_e32 v3, v2
	global_store_dwordx4 v[4:5], v[0:3], off
	s_mov_b64 s[4:5], 0
.LBB11_1087:
	s_andn2_b64 vcc, exec, s[4:5]
	s_cbranch_vccnz .LBB11_1089
; %bb.1088:
	v_cvt_f32_f64_e32 v2, v[0:1]
	v_mov_b32_e32 v3, 0
	global_store_dwordx2 v[4:5], v[2:3], off
.LBB11_1089:
	s_mov_b64 s[4:5], 0
.LBB11_1090:
	s_andn2_b64 vcc, exec, s[4:5]
	s_cbranch_vccnz .LBB11_1092
; %bb.1091:
	v_cvt_f32_f64_e32 v2, v[0:1]
	v_cvt_f16_f32_e32 v2, v2
	global_store_dword v[4:5], v2, off
.LBB11_1092:
	s_mov_b64 s[4:5], 0
.LBB11_1093:
	s_andn2_b64 vcc, exec, s[4:5]
	s_cbranch_vccnz .LBB11_1102
; %bb.1094:
	v_cmp_gt_i16_e32 vcc, 6, v7
	s_mov_b64 s[4:5], -1
	s_cbranch_vccnz .LBB11_1100
; %bb.1095:
	v_cmp_lt_i16_e32 vcc, 6, v7
	s_cbranch_vccz .LBB11_1097
; %bb.1096:
	global_store_dwordx2 v[4:5], v[0:1], off
	s_mov_b64 s[4:5], 0
.LBB11_1097:
	s_andn2_b64 vcc, exec, s[4:5]
	s_cbranch_vccnz .LBB11_1099
; %bb.1098:
	v_cvt_f32_f64_e32 v2, v[0:1]
	global_store_dword v[4:5], v2, off
.LBB11_1099:
	s_mov_b64 s[4:5], 0
.LBB11_1100:
	s_andn2_b64 vcc, exec, s[4:5]
	s_cbranch_vccnz .LBB11_1102
; %bb.1101:
	v_cvt_f32_f64_e32 v2, v[0:1]
	v_cvt_f16_f32_e32 v2, v2
	global_store_short v[4:5], v2, off
.LBB11_1102:
	s_mov_b64 s[4:5], 0
.LBB11_1103:
	s_andn2_b64 vcc, exec, s[4:5]
	s_cbranch_vccnz .LBB11_1119
; %bb.1104:
	v_cmp_gt_i16_e32 vcc, 2, v7
	s_mov_b64 s[4:5], -1
	s_cbranch_vccnz .LBB11_1114
; %bb.1105:
	v_cmp_gt_i16_e32 vcc, 3, v7
	s_cbranch_vccnz .LBB11_1111
; %bb.1106:
	v_cmp_lt_i16_e32 vcc, 3, v7
	s_cbranch_vccz .LBB11_1108
; %bb.1107:
	v_trunc_f64_e32 v[2:3], v[0:1]
	s_movk_i32 s4, 0xffe0
	v_ldexp_f64 v[8:9], v[2:3], s4
	v_floor_f64_e32 v[8:9], v[8:9]
	v_fmac_f64_e32 v[2:3], 0xc1f00000, v[8:9]
	v_cvt_i32_f64_e32 v11, v[8:9]
	v_cvt_u32_f64_e32 v10, v[2:3]
	global_store_dwordx2 v[4:5], v[10:11], off
	s_mov_b64 s[4:5], 0
.LBB11_1108:
	s_andn2_b64 vcc, exec, s[4:5]
	s_cbranch_vccnz .LBB11_1110
; %bb.1109:
	v_cvt_i32_f64_e32 v2, v[0:1]
	global_store_dword v[4:5], v2, off
.LBB11_1110:
	s_mov_b64 s[4:5], 0
.LBB11_1111:
	s_andn2_b64 vcc, exec, s[4:5]
	s_cbranch_vccnz .LBB11_1113
; %bb.1112:
	v_cvt_i32_f64_e32 v2, v[0:1]
	global_store_short v[4:5], v2, off
.LBB11_1113:
	s_mov_b64 s[4:5], 0
.LBB11_1114:
	s_andn2_b64 vcc, exec, s[4:5]
	s_cbranch_vccnz .LBB11_1119
; %bb.1115:
	v_cmp_lt_i16_e32 vcc, 0, v7
	s_mov_b64 s[4:5], -1
	s_cbranch_vccz .LBB11_1117
; %bb.1116:
	v_cvt_i32_f64_e32 v2, v[0:1]
	global_store_byte v[4:5], v2, off
	s_mov_b64 s[4:5], 0
.LBB11_1117:
	s_andn2_b64 vcc, exec, s[4:5]
	s_cbranch_vccnz .LBB11_1119
; %bb.1118:
	v_trunc_f64_e32 v[0:1], v[0:1]
	s_movk_i32 s4, 0xffe0
	v_ldexp_f64 v[2:3], v[0:1], s4
	v_floor_f64_e32 v[2:3], v[2:3]
	v_fmac_f64_e32 v[0:1], 0xc1f00000, v[2:3]
	v_cvt_u32_f64_e32 v0, v[0:1]
	global_store_byte v[4:5], v0, off
	s_endpgm
.LBB11_1119:
	s_endpgm
.LBB11_1120:
	s_or_saveexec_b64 s[14:15], s[14:15]
                                        ; implicit-def: $sgpr17
	s_xor_b64 exec, exec, s[14:15]
	s_cbranch_execz .LBB11_987
.LBB11_1121:
	s_mov_b32 s17, 0x46000000
	v_add_f32_e64 v5, |v4|, s17
	v_and_b32_e32 v5, 0xff, v5
	v_cmp_ne_u32_e32 vcc, 0, v5
	s_andn2_b64 s[12:13], s[12:13], exec
	s_and_b64 s[18:19], vcc, exec
	s_mov_b32 s17, 0
	s_or_b64 s[12:13], s[12:13], s[18:19]
	s_or_b64 exec, exec, s[14:15]
	v_mov_b32_e32 v6, s17
	s_and_saveexec_b64 s[14:15], s[12:13]
	s_cbranch_execnz .LBB11_988
	s_branch .LBB11_989
.LBB11_1122:
	s_trap 2
	s_or_b64 s[6:7], s[6:7], exec
	s_cbranch_execz .LBB11_1035
	s_branch .LBB11_1036
.LBB11_1123:
	s_or_saveexec_b64 s[10:11], s[10:11]
                                        ; implicit-def: $sgpr12
	s_xor_b64 exec, exec, s[10:11]
	s_cbranch_execz .LBB11_341
.LBB11_1124:
	s_mov_b32 s12, 0x46000000
	v_add_f32_e64 v3, |v2|, s12
	v_and_b32_e32 v3, 0xff, v3
	v_cmp_ne_u32_e32 vcc, 0, v3
	s_andn2_b64 s[8:9], s[8:9], exec
	s_and_b64 s[14:15], vcc, exec
	s_mov_b32 s12, 0
	s_or_b64 s[8:9], s[8:9], s[14:15]
	s_or_b64 exec, exec, s[10:11]
	v_mov_b32_e32 v6, s12
	s_and_saveexec_b64 s[10:11], s[8:9]
	s_cbranch_execnz .LBB11_342
	s_branch .LBB11_343
.LBB11_1125:
	s_or_saveexec_b64 s[14:15], s[14:15]
                                        ; implicit-def: $sgpr16
	s_xor_b64 exec, exec, s[14:15]
	s_cbranch_execz .LBB11_910
.LBB11_1126:
	s_mov_b32 s16, 0x46000000
	v_add_f32_e64 v3, |v2|, s16
	v_and_b32_e32 v3, 0xff, v3
	v_cmp_ne_u32_e32 vcc, 0, v3
	s_andn2_b64 s[12:13], s[12:13], exec
	s_and_b64 s[18:19], vcc, exec
	s_mov_b32 s16, 0
	s_or_b64 s[12:13], s[12:13], s[18:19]
	s_or_b64 exec, exec, s[14:15]
	v_mov_b32_e32 v6, s16
	s_and_saveexec_b64 s[14:15], s[12:13]
	s_cbranch_execnz .LBB11_911
	s_branch .LBB11_912
.LBB11_1127:
	s_or_saveexec_b64 s[12:13], s[12:13]
                                        ; implicit-def: $sgpr14
	s_xor_b64 exec, exec, s[12:13]
	s_cbranch_execz .LBB11_1000
.LBB11_1128:
	s_mov_b32 s14, 0x42800000
	v_add_f32_e64 v5, |v4|, s14
	v_and_b32_e32 v5, 0xff, v5
	v_cmp_ne_u32_e32 vcc, 0, v5
	s_andn2_b64 s[10:11], s[10:11], exec
	s_and_b64 s[18:19], vcc, exec
	s_mov_b32 s14, 0
	s_or_b64 s[10:11], s[10:11], s[18:19]
	s_or_b64 exec, exec, s[12:13]
	v_mov_b32_e32 v6, s14
	s_and_saveexec_b64 s[12:13], s[10:11]
	s_cbranch_execnz .LBB11_1001
	s_branch .LBB11_1002
.LBB11_1129:
	s_mov_b64 s[8:9], 0
	s_or_b64 s[6:7], s[6:7], exec
	s_trap 2
	s_branch .LBB11_956
.LBB11_1130:
	s_or_saveexec_b64 s[10:11], s[10:11]
                                        ; implicit-def: $sgpr12
	s_xor_b64 exec, exec, s[10:11]
	s_cbranch_execz .LBB11_354
.LBB11_1131:
	s_mov_b32 s12, 0x42800000
	v_add_f32_e64 v3, |v2|, s12
	v_and_b32_e32 v3, 0xff, v3
	v_cmp_ne_u32_e32 vcc, 0, v3
	s_andn2_b64 s[8:9], s[8:9], exec
	s_and_b64 s[14:15], vcc, exec
	s_mov_b32 s12, 0
	s_or_b64 s[8:9], s[8:9], s[14:15]
	s_or_b64 exec, exec, s[10:11]
	v_mov_b32_e32 v6, s12
	s_and_saveexec_b64 s[10:11], s[8:9]
	s_cbranch_execnz .LBB11_355
	s_branch .LBB11_356
.LBB11_1132:
	s_or_saveexec_b64 s[10:11], s[10:11]
                                        ; implicit-def: $sgpr12
	s_xor_b64 exec, exec, s[10:11]
	s_cbranch_execz .LBB11_479
.LBB11_1133:
	s_mov_b32 s12, 0x46000000
	v_add_f32_e64 v3, |v2|, s12
	v_and_b32_e32 v3, 0xff, v3
	v_cmp_ne_u32_e32 vcc, 0, v3
	s_andn2_b64 s[8:9], s[8:9], exec
	s_and_b64 s[14:15], vcc, exec
	s_mov_b32 s12, 0
	s_or_b64 s[8:9], s[8:9], s[14:15]
	s_or_b64 exec, exec, s[10:11]
	v_mov_b32_e32 v7, s12
	s_and_saveexec_b64 s[10:11], s[8:9]
	s_cbranch_execnz .LBB11_480
	s_branch .LBB11_481
.LBB11_1134:
	s_or_saveexec_b64 s[12:13], s[12:13]
                                        ; implicit-def: $sgpr14
	s_xor_b64 exec, exec, s[12:13]
	s_cbranch_execz .LBB11_922
.LBB11_1135:
	s_mov_b32 s14, 0x42800000
	v_add_f32_e64 v3, |v2|, s14
	v_and_b32_e32 v3, 0xff, v3
	v_cmp_ne_u32_e32 vcc, 0, v3
	s_andn2_b64 s[10:11], s[10:11], exec
	s_and_b64 s[16:17], vcc, exec
	s_mov_b32 s14, 0
	s_or_b64 s[10:11], s[10:11], s[16:17]
	s_or_b64 exec, exec, s[12:13]
	v_mov_b32_e32 v6, s14
	s_and_saveexec_b64 s[12:13], s[10:11]
	s_cbranch_execnz .LBB11_923
	s_branch .LBB11_924
.LBB11_1136:
	s_or_saveexec_b64 s[12:13], s[12:13]
                                        ; implicit-def: $sgpr14
	s_xor_b64 exec, exec, s[12:13]
	s_cbranch_execz .LBB11_491
.LBB11_1137:
	s_mov_b32 s14, 0x42800000
	v_add_f32_e64 v3, |v2|, s14
	v_and_b32_e32 v3, 0xff, v3
	v_cmp_ne_u32_e32 vcc, 0, v3
	s_andn2_b64 s[10:11], s[10:11], exec
	s_and_b64 s[16:17], vcc, exec
	s_mov_b32 s14, 0
	s_or_b64 s[10:11], s[10:11], s[16:17]
	s_or_b64 exec, exec, s[12:13]
	v_mov_b32_e32 v7, s14
	s_and_saveexec_b64 s[12:13], s[10:11]
	s_cbranch_execnz .LBB11_492
	s_branch .LBB11_493
	.section	.rodata,"a",@progbits
	.p2align	6, 0x0
	.amdhsa_kernel _ZN2at6native32elementwise_kernel_manual_unrollILi128ELi4EZNS0_15gpu_kernel_implIZZZNS0_12_GLOBAL__N_121bessel_j0_kernel_cudaERNS_18TensorIteratorBaseEENKUlvE_clEvENKUlvE_clEvEUldE_EEvS5_RKT_EUlibE0_EEviT1_
		.amdhsa_group_segment_fixed_size 0
		.amdhsa_private_segment_fixed_size 8
		.amdhsa_kernarg_size 360
		.amdhsa_user_sgpr_count 8
		.amdhsa_user_sgpr_private_segment_buffer 1
		.amdhsa_user_sgpr_dispatch_ptr 0
		.amdhsa_user_sgpr_queue_ptr 0
		.amdhsa_user_sgpr_kernarg_segment_ptr 1
		.amdhsa_user_sgpr_dispatch_id 0
		.amdhsa_user_sgpr_flat_scratch_init 1
		.amdhsa_user_sgpr_kernarg_preload_length 0
		.amdhsa_user_sgpr_kernarg_preload_offset 0
		.amdhsa_user_sgpr_private_segment_size 0
		.amdhsa_uses_dynamic_stack 0
		.amdhsa_system_sgpr_private_segment_wavefront_offset 1
		.amdhsa_system_sgpr_workgroup_id_x 1
		.amdhsa_system_sgpr_workgroup_id_y 0
		.amdhsa_system_sgpr_workgroup_id_z 0
		.amdhsa_system_sgpr_workgroup_info 0
		.amdhsa_system_vgpr_workitem_id 0
		.amdhsa_next_free_vgpr 56
		.amdhsa_next_free_sgpr 82
		.amdhsa_accum_offset 56
		.amdhsa_reserve_vcc 1
		.amdhsa_reserve_flat_scratch 1
		.amdhsa_float_round_mode_32 0
		.amdhsa_float_round_mode_16_64 0
		.amdhsa_float_denorm_mode_32 3
		.amdhsa_float_denorm_mode_16_64 3
		.amdhsa_dx10_clamp 1
		.amdhsa_ieee_mode 1
		.amdhsa_fp16_overflow 0
		.amdhsa_tg_split 0
		.amdhsa_exception_fp_ieee_invalid_op 0
		.amdhsa_exception_fp_denorm_src 0
		.amdhsa_exception_fp_ieee_div_zero 0
		.amdhsa_exception_fp_ieee_overflow 0
		.amdhsa_exception_fp_ieee_underflow 0
		.amdhsa_exception_fp_ieee_inexact 0
		.amdhsa_exception_int_div_zero 0
	.end_amdhsa_kernel
	.section	.text._ZN2at6native32elementwise_kernel_manual_unrollILi128ELi4EZNS0_15gpu_kernel_implIZZZNS0_12_GLOBAL__N_121bessel_j0_kernel_cudaERNS_18TensorIteratorBaseEENKUlvE_clEvENKUlvE_clEvEUldE_EEvS5_RKT_EUlibE0_EEviT1_,"axG",@progbits,_ZN2at6native32elementwise_kernel_manual_unrollILi128ELi4EZNS0_15gpu_kernel_implIZZZNS0_12_GLOBAL__N_121bessel_j0_kernel_cudaERNS_18TensorIteratorBaseEENKUlvE_clEvENKUlvE_clEvEUldE_EEvS5_RKT_EUlibE0_EEviT1_,comdat
.Lfunc_end11:
	.size	_ZN2at6native32elementwise_kernel_manual_unrollILi128ELi4EZNS0_15gpu_kernel_implIZZZNS0_12_GLOBAL__N_121bessel_j0_kernel_cudaERNS_18TensorIteratorBaseEENKUlvE_clEvENKUlvE_clEvEUldE_EEvS5_RKT_EUlibE0_EEviT1_, .Lfunc_end11-_ZN2at6native32elementwise_kernel_manual_unrollILi128ELi4EZNS0_15gpu_kernel_implIZZZNS0_12_GLOBAL__N_121bessel_j0_kernel_cudaERNS_18TensorIteratorBaseEENKUlvE_clEvENKUlvE_clEvEUldE_EEvS5_RKT_EUlibE0_EEviT1_
                                        ; -- End function
	.section	.AMDGPU.csdata,"",@progbits
; Kernel info:
; codeLenInByte = 23964
; NumSgprs: 88
; NumVgprs: 56
; NumAgprs: 0
; TotalNumVgprs: 56
; ScratchSize: 8
; MemoryBound: 0
; FloatMode: 240
; IeeeMode: 1
; LDSByteSize: 0 bytes/workgroup (compile time only)
; SGPRBlocks: 10
; VGPRBlocks: 6
; NumSGPRsForWavesPerEU: 88
; NumVGPRsForWavesPerEU: 56
; AccumOffset: 56
; Occupancy: 8
; WaveLimiterHint : 1
; COMPUTE_PGM_RSRC2:SCRATCH_EN: 1
; COMPUTE_PGM_RSRC2:USER_SGPR: 8
; COMPUTE_PGM_RSRC2:TRAP_HANDLER: 0
; COMPUTE_PGM_RSRC2:TGID_X_EN: 1
; COMPUTE_PGM_RSRC2:TGID_Y_EN: 0
; COMPUTE_PGM_RSRC2:TGID_Z_EN: 0
; COMPUTE_PGM_RSRC2:TIDIG_COMP_CNT: 0
; COMPUTE_PGM_RSRC3_GFX90A:ACCUM_OFFSET: 13
; COMPUTE_PGM_RSRC3_GFX90A:TG_SPLIT: 0
	.text
	.p2align	2                               ; -- Begin function _ZN2at6native25elementwise_kernel_helperILb0EZZZNS0_12_GLOBAL__N_121bessel_j0_kernel_cudaERNS_18TensorIteratorBaseEENKUlvE_clEvENKUlvE0_clEvEUlfE_NS0_6memory8policies11unroll_baseILi256ESt5arrayIPcLm2EE23TrivialOffsetCalculatorILi1EjESF_NS8_15LoadWithoutCastENS8_16StoreWithoutCastELi4ELi1EEEEEvT0_T1_
	.type	_ZN2at6native25elementwise_kernel_helperILb0EZZZNS0_12_GLOBAL__N_121bessel_j0_kernel_cudaERNS_18TensorIteratorBaseEENKUlvE_clEvENKUlvE0_clEvEUlfE_NS0_6memory8policies11unroll_baseILi256ESt5arrayIPcLm2EE23TrivialOffsetCalculatorILi1EjESF_NS8_15LoadWithoutCastENS8_16StoreWithoutCastELi4ELi1EEEEEvT0_T1_,@function
_ZN2at6native25elementwise_kernel_helperILb0EZZZNS0_12_GLOBAL__N_121bessel_j0_kernel_cudaERNS_18TensorIteratorBaseEENKUlvE_clEvENKUlvE0_clEvEUlfE_NS0_6memory8policies11unroll_baseILi256ESt5arrayIPcLm2EE23TrivialOffsetCalculatorILi1EjESF_NS8_15LoadWithoutCastENS8_16StoreWithoutCastELi4ELi1EEEEEvT0_T1_: ; @_ZN2at6native25elementwise_kernel_helperILb0EZZZNS0_12_GLOBAL__N_121bessel_j0_kernel_cudaERNS_18TensorIteratorBaseEENKUlvE_clEvENKUlvE0_clEvEUlfE_NS0_6memory8policies11unroll_baseILi256ESt5arrayIPcLm2EE23TrivialOffsetCalculatorILi1EjESF_NS8_15LoadWithoutCastENS8_16StoreWithoutCastELi4ELi1EEEEEvT0_T1_
; %bb.0:
	s_waitcnt vmcnt(0) expcnt(0) lgkmcnt(0)
	v_and_b32_e32 v5, 0x3ff, v31
	s_lshl_b32 s20, s12, 10
	v_cmp_lt_i32_e64 s[4:5], v5, v4
	v_mov_b32_e32 v13, 0
	v_or_b32_e32 v10, s20, v5
	v_mov_b32_e32 v14, 0
	v_mov_b32_e32 v6, v5
	s_and_saveexec_b64 s[6:7], s[4:5]
	s_cbranch_execz .LBB12_2
; %bb.1:
	v_mov_b32_e32 v11, 0
	v_lshlrev_b64 v[6:7], 2, v[10:11]
	v_add_co_u32_e32 v6, vcc, v2, v6
	v_addc_co_u32_e32 v7, vcc, v3, v7, vcc
	flat_load_dword v14, v[6:7]
	v_add_u32_e32 v6, 0x100, v5
.LBB12_2:
	s_or_b64 exec, exec, s[6:7]
	v_cmp_lt_i32_e32 vcc, v6, v4
	s_and_saveexec_b64 s[6:7], vcc
	s_cbranch_execz .LBB12_4
; %bb.3:
	v_add_u32_e32 v8, s20, v6
	v_mov_b32_e32 v9, 0
	v_lshlrev_b64 v[8:9], 2, v[8:9]
	v_add_co_u32_e32 v8, vcc, v2, v8
	v_addc_co_u32_e32 v9, vcc, v3, v9, vcc
	flat_load_dword v13, v[8:9]
	v_add_u32_e32 v6, 0x100, v6
.LBB12_4:
	s_or_b64 exec, exec, s[6:7]
	v_cmp_lt_i32_e32 vcc, v6, v4
	v_mov_b32_e32 v11, 0
	v_mov_b32_e32 v12, 0
	s_and_saveexec_b64 s[6:7], vcc
	s_cbranch_execz .LBB12_7
; %bb.5:
	v_add_u32_e32 v8, s20, v6
	v_mov_b32_e32 v9, 0
	v_lshlrev_b64 v[8:9], 2, v[8:9]
	v_add_co_u32_e32 v8, vcc, v2, v8
	v_addc_co_u32_e32 v9, vcc, v3, v9, vcc
	flat_load_dword v12, v[8:9]
	v_add_u32_e32 v6, 0x100, v6
	s_or_b64 exec, exec, s[6:7]
	v_cmp_lt_i32_e32 vcc, v6, v4
	s_and_saveexec_b64 s[6:7], vcc
	s_cbranch_execnz .LBB12_8
.LBB12_6:
	s_or_b64 exec, exec, s[6:7]
                                        ; implicit-def: $vgpr6_vgpr7_vgpr8_vgpr9
	s_and_saveexec_b64 s[12:13], s[4:5]
	s_cbranch_execnz .LBB12_9
	s_branch .LBB12_26
.LBB12_7:
	s_or_b64 exec, exec, s[6:7]
	v_cmp_lt_i32_e32 vcc, v6, v4
	s_and_saveexec_b64 s[6:7], vcc
	s_cbranch_execz .LBB12_6
.LBB12_8:
	v_add_u32_e32 v6, s20, v6
	v_mov_b32_e32 v7, 0
	v_lshlrev_b64 v[6:7], 2, v[6:7]
	v_add_co_u32_e32 v2, vcc, v2, v6
	v_addc_co_u32_e32 v3, vcc, v3, v7, vcc
	flat_load_dword v11, v[2:3]
	s_or_b64 exec, exec, s[6:7]
                                        ; implicit-def: $vgpr6_vgpr7_vgpr8_vgpr9
	s_and_saveexec_b64 s[12:13], s[4:5]
	s_cbranch_execz .LBB12_26
.LBB12_9:
	s_waitcnt vmcnt(0) lgkmcnt(0)
	v_cmp_gt_f32_e32 vcc, 0, v14
	v_cndmask_b32_e64 v3, v14, -v14, vcc
	s_mov_b32 s6, 0x40a00000
	v_cmp_ge_f32_e32 vcc, s6, v3
	v_mul_f32_e32 v2, v3, v3
                                        ; implicit-def: $vgpr6
	s_and_saveexec_b64 s[6:7], vcc
	s_xor_b64 s[6:7], exec, s[6:7]
	s_cbranch_execz .LBB12_15
; %bb.10:
	s_mov_b32 s8, 0x3727c5ac
	v_cmp_ngt_f32_e32 vcc, s8, v3
                                        ; implicit-def: $vgpr6
	s_and_saveexec_b64 s[8:9], vcc
	s_xor_b64 s[8:9], exec, s[8:9]
	s_cbranch_execz .LBB12_12
; %bb.11:
	v_mov_b32_e32 v3, 0x43f9c815
	v_fmac_f32_e32 v3, 0, v2
	v_mov_b32_e32 v7, 0x4829b65a
	v_fmac_f32_e32 v7, v2, v3
	;; [unrolled: 2-line block ×4, first 2 shown]
	s_mov_b32 s10, 0xcf8ee29d
	v_mul_f32_e32 v6, 0, v2
	v_mul_f32_e32 v7, v2, v7
	s_mov_b32 s11, 0x53f5f59c
	v_pk_add_f32 v[6:7], v[6:7], s[10:11]
	s_mov_b32 s10, 0x53e3ba8e
	s_mov_b32 s11, 0x578d3514
	v_pk_fma_f32 v[6:7], v[2:3], v[6:7], s[10:11] op_sel_hi:[0,1,1]
	s_mov_b32 s10, 0xd762b0a7
	s_mov_b32 s11, 0x5ae20a0c
	v_pk_fma_f32 v[6:7], v[2:3], v[6:7], s[10:11] op_sel_hi:[0,1,1]
	;; [unrolled: 3-line block ×3, first 2 shown]
	s_mov_b32 s10, 0xc0b90fdc
	s_mov_b32 s11, 0xc1f3c525
	v_pk_add_f32 v[2:3], v[2:3], s[10:11] op_sel_hi:[0,1]
	v_mul_f32_e32 v2, v2, v3
	v_mul_f32_e32 v2, v2, v6
	v_div_scale_f32 v3, s[10:11], v7, v7, v2
	v_rcp_f32_e32 v6, v3
	v_fma_f32 v8, -v3, v6, 1.0
	v_fmac_f32_e32 v6, v8, v6
	v_div_scale_f32 v8, vcc, v2, v7, v2
	v_mul_f32_e32 v9, v8, v6
	v_fma_f32 v14, -v3, v9, v8
	v_fmac_f32_e32 v9, v14, v6
	v_fma_f32 v3, -v3, v9, v8
	v_div_fmas_f32 v3, v3, v6, v9
	v_div_fixup_f32 v6, v3, v7, v2
                                        ; implicit-def: $vgpr2
.LBB12_12:
	s_andn2_saveexec_b64 s[8:9], s[8:9]
; %bb.13:
	s_mov_b32 s10, 0xbe800000
	v_fma_f32 v6, v2, s10, 1.0
; %bb.14:
	s_or_b64 exec, exec, s[8:9]
                                        ; implicit-def: $vgpr2
                                        ; implicit-def: $vgpr3
.LBB12_15:
	s_andn2_saveexec_b64 s[14:15], s[6:7]
	s_cbranch_execz .LBB12_25
; %bb.16:
	v_add_f32_e32 v6, 0xbf490fdb, v3
	v_and_b32_e32 v7, 0x7fffffff, v6
	s_brev_b32 s6, 18
	v_cmp_nlt_f32_e64 s[16:17], |v6|, s6
	v_lshrrev_b32_e32 v16, 23, v7
                                        ; implicit-def: $vgpr8
                                        ; implicit-def: $vgpr9
	s_and_saveexec_b64 s[6:7], s[16:17]
	s_xor_b64 s[18:19], exec, s[6:7]
	s_cbranch_execz .LBB12_18
; %bb.17:
	v_add_u32_e32 v8, 0xffffff88, v16
	v_not_b32_e32 v14, 63
	v_cmp_lt_u32_e32 vcc, 63, v8
	v_cndmask_b32_e32 v14, 0, v14, vcc
	v_add_u32_e32 v8, v14, v8
	v_not_b32_e32 v14, 31
	v_cmp_lt_u32_e64 s[6:7], 31, v8
	v_cndmask_b32_e64 v15, 0, v14, s[6:7]
	v_add_u32_e32 v8, v15, v8
	v_cmp_lt_u32_e64 s[8:9], 31, v8
	v_cndmask_b32_e64 v14, 0, v14, s[8:9]
	v_add_u32_e32 v17, v14, v8
	v_and_b32_e32 v8, 0x7fffff, v7
	v_or_b32_e32 v28, 0x800000, v8
	s_mov_b32 s10, 0xfe5163ab
	v_mad_u64_u32 v[14:15], s[10:11], v28, s10, 0
	v_mov_b32_e32 v9, 0
	v_mov_b32_e32 v8, v15
	s_mov_b32 s10, 0x3c439041
	v_mad_u64_u32 v[18:19], s[10:11], v28, s10, v[8:9]
	v_mov_b32_e32 v8, v19
	s_mov_b32 s10, 0xdb629599
	v_mad_u64_u32 v[20:21], s[10:11], v28, s10, v[8:9]
	;; [unrolled: 3-line block ×6, first 2 shown]
	v_cndmask_b32_e32 v15, v26, v22, vcc
	v_cndmask_b32_e32 v8, v8, v24, vcc
	v_cndmask_b32_e32 v9, v9, v26, vcc
	v_cndmask_b32_e64 v19, v8, v15, s[6:7]
	v_cndmask_b32_e64 v8, v9, v8, s[6:7]
	v_cndmask_b32_e32 v9, v24, v20, vcc
	v_cndmask_b32_e64 v15, v15, v9, s[6:7]
	v_sub_u32_e32 v21, 32, v17
	v_cmp_eq_u32_e64 s[10:11], 0, v17
	v_cndmask_b32_e32 v17, v22, v18, vcc
	v_cndmask_b32_e64 v8, v8, v19, s[8:9]
	v_cndmask_b32_e64 v19, v19, v15, s[8:9]
	;; [unrolled: 1-line block ×3, first 2 shown]
	v_alignbit_b32 v23, v8, v19, v21
	v_cndmask_b32_e64 v15, v15, v9, s[8:9]
	v_cndmask_b32_e64 v8, v23, v8, s[10:11]
	v_alignbit_b32 v18, v19, v15, v21
	v_cndmask_b32_e64 v18, v18, v19, s[10:11]
	v_bfe_u32 v23, v8, 29, 1
	v_cndmask_b32_e32 v14, v20, v14, vcc
	v_alignbit_b32 v19, v8, v18, 30
	v_sub_u32_e32 v24, 0, v23
	v_cndmask_b32_e64 v14, v17, v14, s[6:7]
	v_xor_b32_e32 v25, v19, v24
	v_cndmask_b32_e64 v9, v9, v14, s[8:9]
	v_alignbit_b32 v14, v15, v9, v21
	v_ffbh_u32_e32 v17, v25
	v_cndmask_b32_e64 v14, v14, v15, s[10:11]
	v_add_u32_e32 v17, 1, v17
	v_cmp_ne_u32_e32 vcc, v19, v24
	v_alignbit_b32 v15, v18, v14, 30
	v_cndmask_b32_e32 v17, 33, v17, vcc
	v_alignbit_b32 v9, v14, v9, 30
	v_xor_b32_e32 v15, v15, v24
	v_sub_u32_e32 v18, 32, v17
	v_xor_b32_e32 v9, v9, v24
	v_alignbit_b32 v19, v25, v15, v18
	v_alignbit_b32 v9, v15, v9, v18
	;; [unrolled: 1-line block ×3, first 2 shown]
	v_ffbh_u32_e32 v15, v14
	v_min_u32_e32 v15, 32, v15
	v_lshrrev_b32_e32 v22, 29, v8
	v_sub_u32_e32 v18, 31, v15
	v_alignbit_b32 v9, v14, v9, v18
	v_lshlrev_b32_e32 v14, 31, v22
	v_or_b32_e32 v18, 0x33800000, v14
	v_add_lshl_u32 v15, v15, v17, 23
	v_lshrrev_b32_e32 v9, 9, v9
	v_sub_u32_e32 v15, v18, v15
	v_or_b32_e32 v9, v15, v9
	v_alignbit_b32 v15, v17, v19, 9
	v_or_b32_e32 v14, v15, v14
	v_xor_b32_e32 v14, 1.0, v14
	s_mov_b32 s6, 0x3fc90fda
	v_mul_f32_e32 v15, 0x3fc90fda, v14
	v_fma_f32 v17, v14, s6, -v15
	v_fmac_f32_e32 v17, 0x33a22168, v14
	v_fmac_f32_e32 v17, 0x3fc90fda, v9
	v_lshrrev_b32_e32 v8, 30, v8
	v_add_f32_e32 v9, v15, v17
	v_add_u32_e32 v8, v23, v8
	s_andn2_saveexec_b64 s[6:7], s[18:19]
	s_branch .LBB12_19
.LBB12_18:
	s_andn2_saveexec_b64 s[6:7], s[18:19]
.LBB12_19:
	s_mov_b32 s8, 0x3f22f983
	v_mul_f32_e64 v8, |v6|, s8
	v_rndne_f32_e32 v14, v8
	s_mov_b32 s8, 0xbfc90fda
	v_cvt_i32_f32_e32 v8, v14
	v_fma_f32 v9, v14, s8, |v6|
	v_fmac_f32_e32 v9, 0xb3a22168, v14
	v_fmac_f32_e32 v9, 0xa7c234c4, v14
; %bb.20:
	s_or_b64 exec, exec, s[6:7]
                                        ; implicit-def: $vgpr14
                                        ; implicit-def: $vgpr15
	s_and_saveexec_b64 s[6:7], s[16:17]
	s_xor_b64 s[16:17], exec, s[6:7]
	s_cbranch_execz .LBB12_22
; %bb.21:
	v_add_u32_e32 v14, 0xffffff88, v16
	v_not_b32_e32 v16, 63
	v_cmp_lt_u32_e32 vcc, 63, v14
	v_cndmask_b32_e32 v16, 0, v16, vcc
	v_add_u32_e32 v14, v16, v14
	v_not_b32_e32 v16, 31
	v_cmp_lt_u32_e64 s[6:7], 31, v14
	v_cndmask_b32_e64 v17, 0, v16, s[6:7]
	v_add_u32_e32 v14, v17, v14
	v_cmp_lt_u32_e64 s[8:9], 31, v14
	v_cndmask_b32_e64 v16, 0, v16, s[8:9]
	v_add_u32_e32 v28, v16, v14
	v_and_b32_e32 v14, 0x7fffff, v7
	v_or_b32_e32 v29, 0x800000, v14
	s_mov_b32 s10, 0xfe5163ab
	v_mad_u64_u32 v[16:17], s[10:11], v29, s10, 0
	v_mov_b32_e32 v15, 0
	v_mov_b32_e32 v14, v17
	s_mov_b32 s10, 0x3c439041
	v_mad_u64_u32 v[18:19], s[10:11], v29, s10, v[14:15]
	v_mov_b32_e32 v14, v19
	s_mov_b32 s10, 0xdb629599
	v_mad_u64_u32 v[20:21], s[10:11], v29, s10, v[14:15]
	v_mov_b32_e32 v14, v21
	s_mov_b32 s10, 0xf534ddc0
	v_mad_u64_u32 v[22:23], s[10:11], v29, s10, v[14:15]
	v_mov_b32_e32 v14, v23
	s_mov_b32 s10, 0xfc2757d1
	v_mad_u64_u32 v[24:25], s[10:11], v29, s10, v[14:15]
	v_mov_b32_e32 v14, v25
	s_mov_b32 s10, 0x4e441529
	v_mad_u64_u32 v[26:27], s[10:11], v29, s10, v[14:15]
	v_mov_b32_e32 v14, v27
	s_mov_b32 s10, 0xa2f9836e
	v_mad_u64_u32 v[14:15], s[10:11], v29, s10, v[14:15]
	v_cndmask_b32_e32 v17, v26, v22, vcc
	v_cndmask_b32_e32 v14, v14, v24, vcc
	;; [unrolled: 1-line block ×3, first 2 shown]
	v_cndmask_b32_e64 v19, v14, v17, s[6:7]
	v_cndmask_b32_e64 v14, v15, v14, s[6:7]
	v_cndmask_b32_e32 v15, v24, v20, vcc
	v_cndmask_b32_e64 v17, v17, v15, s[6:7]
	v_cndmask_b32_e32 v18, v22, v18, vcc
	v_cndmask_b32_e64 v14, v14, v19, s[8:9]
	v_cndmask_b32_e64 v19, v19, v17, s[8:9]
	v_sub_u32_e32 v21, 32, v28
	v_cndmask_b32_e64 v15, v15, v18, s[6:7]
	v_alignbit_b32 v23, v14, v19, v21
	v_cmp_eq_u32_e64 s[10:11], 0, v28
	v_cndmask_b32_e64 v17, v17, v15, s[8:9]
	v_cndmask_b32_e64 v14, v23, v14, s[10:11]
	v_alignbit_b32 v22, v19, v17, v21
	v_cndmask_b32_e64 v19, v22, v19, s[10:11]
	v_bfe_u32 v24, v14, 29, 1
	v_cndmask_b32_e32 v16, v20, v16, vcc
	v_alignbit_b32 v22, v14, v19, 30
	v_sub_u32_e32 v25, 0, v24
	v_cndmask_b32_e64 v16, v18, v16, s[6:7]
	v_xor_b32_e32 v26, v22, v25
	v_cndmask_b32_e64 v15, v15, v16, s[8:9]
	v_alignbit_b32 v16, v17, v15, v21
	v_ffbh_u32_e32 v18, v26
	v_cndmask_b32_e64 v16, v16, v17, s[10:11]
	v_add_u32_e32 v18, 1, v18
	v_cmp_ne_u32_e32 vcc, v22, v25
	v_alignbit_b32 v17, v19, v16, 30
	v_cndmask_b32_e32 v18, 33, v18, vcc
	v_alignbit_b32 v15, v16, v15, 30
	v_xor_b32_e32 v17, v17, v25
	v_sub_u32_e32 v19, 32, v18
	v_xor_b32_e32 v15, v15, v25
	v_alignbit_b32 v20, v26, v17, v19
	v_alignbit_b32 v15, v17, v15, v19
	;; [unrolled: 1-line block ×3, first 2 shown]
	v_ffbh_u32_e32 v17, v16
	v_min_u32_e32 v17, 32, v17
	v_lshrrev_b32_e32 v23, 29, v14
	v_sub_u32_e32 v19, 31, v17
	v_alignbit_b32 v15, v16, v15, v19
	v_lshlrev_b32_e32 v16, 31, v23
	v_or_b32_e32 v19, 0x33800000, v16
	v_add_lshl_u32 v17, v17, v18, 23
	v_lshrrev_b32_e32 v15, 9, v15
	v_sub_u32_e32 v17, v19, v17
	v_or_b32_e32 v15, v17, v15
	v_alignbit_b32 v17, v18, v20, 9
	v_or_b32_e32 v16, v17, v16
	v_xor_b32_e32 v16, 1.0, v16
	s_mov_b32 s6, 0x3fc90fda
	v_mul_f32_e32 v17, 0x3fc90fda, v16
	v_fma_f32 v18, v16, s6, -v17
	v_fmac_f32_e32 v18, 0x33a22168, v16
	v_fmac_f32_e32 v18, 0x3fc90fda, v15
	v_lshrrev_b32_e32 v14, 30, v14
	v_add_f32_e32 v15, v17, v18
	v_add_u32_e32 v14, v24, v14
	s_andn2_saveexec_b64 s[6:7], s[16:17]
	s_cbranch_execnz .LBB12_23
	s_branch .LBB12_24
.LBB12_22:
	s_andn2_saveexec_b64 s[6:7], s[16:17]
.LBB12_23:
	s_mov_b32 s8, 0x3f22f983
	v_mul_f32_e64 v14, |v6|, s8
	v_rndne_f32_e32 v16, v14
	s_mov_b32 s8, 0xbfc90fda
	v_cvt_i32_f32_e32 v14, v16
	v_fma_f32 v15, v16, s8, |v6|
	v_fmac_f32_e32 v15, 0xb3a22168, v16
	v_fmac_f32_e32 v15, 0xa7c234c4, v16
.LBB12_24:
	s_or_b64 exec, exec, s[6:7]
	s_mov_b32 s8, 0x41c80000
	v_div_scale_f32 v16, s[6:7], v2, v2, s8
	v_rcp_f32_e32 v17, v16
	v_div_scale_f32 v18, vcc, s8, v2, s8
	v_mov_b32_e32 v24, 0xbf000004
	v_fma_f32 v19, -v16, v17, 1.0
	v_fmac_f32_e32 v17, v19, v17
	v_mul_f32_e32 v19, v18, v17
	v_fma_f32 v20, -v16, v19, v18
	v_fmac_f32_e32 v19, v20, v17
	v_fma_f32 v16, -v16, v19, v18
	v_div_fmas_f32 v16, v16, v17, v19
	v_div_fixup_f32 v2, v16, v2, s8
	v_mov_b32_e32 v16, 0x3a50e985
	v_fmac_f32_e32 v16, 0, v2
	v_mov_b32_e32 v17, 0x3da9a586
	v_fmac_f32_e32 v17, v2, v16
	;; [unrolled: 2-line block ×12, first 2 shown]
	v_fma_f32 v16, v2, v18, 1.0
	v_mov_b32_e32 v18, 0xbc3a3a12
	v_fmac_f32_e32 v18, 0, v2
	v_mov_b32_e32 v19, 0xbfa429da
	v_fmac_f32_e32 v19, v2, v18
	;; [unrolled: 2-line block ×9, first 2 shown]
	v_mov_b32_e32 v20, 0x44561b86
	v_fma_f32 v17, v2, v17, 1.0
	v_fmac_f32_e32 v20, v2, v18
	v_mov_b32_e32 v18, 0x4572a66e
	v_div_scale_f32 v21, s[6:7], v16, v16, v17
	v_fmac_f32_e32 v18, v2, v20
	v_mov_b32_e32 v20, 0x45e243be
	v_rcp_f32_e32 v22, v21
	v_fmac_f32_e32 v20, v2, v18
	v_mov_b32_e32 v18, 0x45b955d1
	v_fmac_f32_e32 v18, v2, v20
	v_mov_b32_e32 v20, 0x4500e17e
	;; [unrolled: 2-line block ×3, first 2 shown]
	v_fmac_f32_e32 v18, v2, v20
	v_fma_f32 v2, -v21, v22, 1.0
	v_fmac_f32_e32 v22, v2, v22
	v_div_scale_f32 v2, vcc, v17, v16, v17
	v_mul_f32_e32 v20, v2, v22
	v_fma_f32 v23, -v21, v20, v2
	v_fmac_f32_e32 v20, v23, v22
	v_fma_f32 v2, -v21, v20, v2
	v_div_fmas_f32 v2, v2, v22, v20
	v_div_fixup_f32 v2, v2, v16, v17
	v_mul_f32_e32 v16, v9, v9
	v_mov_b32_e32 v22, 0xbab64f3b
	v_mov_b32_e32 v20, 0x3c0881c4
	v_fmac_f32_e32 v22, 0x37d75334, v16
	v_mov_b32_e32 v23, 0x3d2aabf7
	v_fmac_f32_e32 v20, 0xb94c1982, v16
	v_mov_b32_e32 v21, 0xbe2aaa9d
	v_fma_f32 v22, v16, v22, v23
	v_fma_f32 v20, v16, v20, v21
	;; [unrolled: 1-line block ×3, first 2 shown]
	v_mul_f32_e32 v20, v16, v20
	v_fma_f32 v16, v16, v22, 1.0
	v_and_b32_e32 v22, 1, v8
	v_fmac_f32_e32 v9, v9, v20
	v_cmp_eq_u32_e32 vcc, 0, v22
	v_lshlrev_b32_e32 v8, 30, v8
	v_cndmask_b32_e64 v9, -v9, v16, vcc
	v_and_b32_e32 v8, 0x80000000, v8
	s_mov_b32 s10, 0xc0a00000
	v_xor_b32_e32 v8, v8, v9
	v_div_scale_f32 v9, s[6:7], v3, v3, s10
	v_rcp_f32_e32 v16, v9
	s_movk_i32 s8, 0x1f8
	v_cmp_class_f32_e64 s[6:7], v6, s8
	v_mov_b32_e32 v17, 0x3c0881c4
	v_fma_f32 v25, -v9, v16, 1.0
	v_fmac_f32_e32 v16, v25, v16
	v_div_scale_f32 v25, vcc, s10, v3, s10
	v_mul_f32_e32 v26, v25, v16
	v_fma_f32 v27, -v9, v26, v25
	v_fmac_f32_e32 v26, v27, v16
	v_fma_f32 v9, -v9, v26, v25
	v_div_scale_f32 v25, s[8:9], v18, v18, v19
	v_rcp_f32_e32 v27, v25
	v_div_fmas_f32 v9, v9, v16, v26
	v_div_fixup_f32 v9, v9, v3, s10
	v_mov_b32_e32 v20, 0xbab64f3b
	v_fma_f32 v16, -v25, v27, 1.0
	v_fmac_f32_e32 v27, v16, v27
	v_div_scale_f32 v16, vcc, v19, v18, v19
	v_mul_f32_e32 v26, v16, v27
	v_fma_f32 v28, -v25, v26, v16
	v_fmac_f32_e32 v26, v28, v27
	v_fma_f32 v16, -v25, v26, v16
	v_div_fmas_f32 v16, v16, v27, v26
	v_div_fixup_f32 v16, v16, v18, v19
	v_mul_f32_e32 v9, v9, v16
	v_mul_f32_e32 v16, v15, v15
	v_fmac_f32_e32 v17, 0xb94c1982, v16
	v_fmac_f32_e32 v21, v16, v17
	;; [unrolled: 1-line block ×3, first 2 shown]
	v_mul_f32_e32 v17, v16, v21
	v_fmac_f32_e32 v23, v16, v20
	v_fmac_f32_e32 v15, v15, v17
	;; [unrolled: 1-line block ×3, first 2 shown]
	v_and_b32_e32 v17, 1, v14
	v_lshlrev_b32_e32 v14, 30, v14
	v_fma_f32 v16, v16, v24, 1.0
	v_cmp_eq_u32_e32 vcc, 0, v17
	v_and_b32_e32 v14, 0x80000000, v14
	v_xor_b32_e32 v6, v7, v6
	v_cndmask_b32_e32 v15, v16, v15, vcc
	v_xor_b32_e32 v6, v6, v14
	v_mov_b32_e32 v22, 0x7fc00000
	v_xor_b32_e32 v6, v6, v15
	v_cndmask_b32_e64 v8, v22, v8, s[6:7]
	v_cndmask_b32_e64 v6, v22, v6, s[6:7]
	s_mov_b32 s6, 0xf800000
	v_mul_f32_e32 v7, 0x4f800000, v3
	v_cmp_gt_f32_e32 vcc, s6, v3
	v_cndmask_b32_e32 v3, v3, v7, vcc
	v_sqrt_f32_e32 v7, v3
	v_mul_f32_e32 v6, v9, v6
	v_fmac_f32_e32 v6, v2, v8
	v_mul_f32_e32 v2, 0x3f4c422a, v6
	v_add_u32_e32 v6, -1, v7
	v_fma_f32 v8, -v6, v7, v3
	v_cmp_ge_f32_e64 s[6:7], 0, v8
	v_add_u32_e32 v8, 1, v7
	v_cndmask_b32_e64 v6, v7, v6, s[6:7]
	v_fma_f32 v7, -v8, v7, v3
	v_cmp_lt_f32_e64 s[6:7], 0, v7
	v_cndmask_b32_e64 v6, v6, v8, s[6:7]
	v_mul_f32_e32 v7, 0x37800000, v6
	v_cndmask_b32_e32 v6, v6, v7, vcc
	v_mov_b32_e32 v7, 0x260
	v_cmp_class_f32_e32 vcc, v3, v7
	v_cndmask_b32_e32 v3, v6, v3, vcc
	v_div_scale_f32 v6, s[6:7], v3, v3, v2
	v_rcp_f32_e32 v7, v6
	v_fma_f32 v8, -v6, v7, 1.0
	v_fmac_f32_e32 v7, v8, v7
	v_div_scale_f32 v8, vcc, v2, v3, v2
	v_mul_f32_e32 v9, v8, v7
	v_fma_f32 v14, -v6, v9, v8
	v_fmac_f32_e32 v9, v14, v7
	v_fma_f32 v6, -v6, v9, v8
	v_div_fmas_f32 v6, v6, v7, v9
	v_div_fixup_f32 v6, v6, v3, v2
.LBB12_25:
	s_or_b64 exec, exec, s[14:15]
.LBB12_26:
	s_or_b64 exec, exec, s[12:13]
	v_add_u32_e32 v3, 0x100, v5
	v_cmp_lt_i32_e32 vcc, v3, v4
	s_and_saveexec_b64 s[12:13], vcc
	s_cbranch_execz .LBB12_44
; %bb.27:
	s_waitcnt vmcnt(0) lgkmcnt(0)
	v_cmp_gt_f32_e32 vcc, 0, v13
	v_cndmask_b32_e64 v13, v13, -v13, vcc
	s_mov_b32 s6, 0x40a00000
	v_cmp_ge_f32_e32 vcc, s6, v13
	v_mul_f32_e32 v2, v13, v13
	s_and_saveexec_b64 s[6:7], vcc
	s_xor_b64 s[6:7], exec, s[6:7]
	s_cbranch_execz .LBB12_33
; %bb.28:
	s_mov_b32 s8, 0x3727c5ac
	v_cmp_ngt_f32_e32 vcc, s8, v13
	s_and_saveexec_b64 s[8:9], vcc
	s_xor_b64 s[8:9], exec, s[8:9]
	s_cbranch_execz .LBB12_30
; %bb.29:
	v_mov_b32_e32 v7, 0x43f9c815
	v_fmac_f32_e32 v7, 0, v2
	v_mov_b32_e32 v13, 0x4829b65a
	v_fmac_f32_e32 v13, v2, v7
	;; [unrolled: 2-line block ×4, first 2 shown]
	s_mov_b32 s10, 0xcf8ee29d
	v_mul_f32_e32 v14, 0, v2
	v_mul_f32_e32 v15, v2, v13
	s_mov_b32 s11, 0x53f5f59c
	v_pk_add_f32 v[14:15], v[14:15], s[10:11]
	s_mov_b32 s10, 0x53e3ba8e
	s_mov_b32 s11, 0x578d3514
	v_pk_fma_f32 v[14:15], v[2:3], v[14:15], s[10:11] op_sel_hi:[0,1,1]
	s_mov_b32 s10, 0xd762b0a7
	s_mov_b32 s11, 0x5ae20a0c
	v_pk_fma_f32 v[14:15], v[2:3], v[14:15], s[10:11] op_sel_hi:[0,1,1]
	s_mov_b32 s10, 0x5a09f7c3
	s_mov_b32 s11, 0x5dbdf1a6
	v_pk_fma_f32 v[14:15], v[2:3], v[14:15], s[10:11] op_sel_hi:[0,1,1]
	s_mov_b32 s10, 0xc0b90fdc
	s_mov_b32 s11, 0xc1f3c525
	v_pk_add_f32 v[16:17], v[2:3], s[10:11] op_sel_hi:[0,1]
	v_mul_f32_e32 v2, v16, v17
	v_mul_f32_e32 v2, v2, v14
	v_div_scale_f32 v7, s[10:11], v15, v15, v2
	v_rcp_f32_e32 v13, v7
	v_fma_f32 v14, -v7, v13, 1.0
	v_fmac_f32_e32 v13, v14, v13
	v_div_scale_f32 v14, vcc, v2, v15, v2
	v_mul_f32_e32 v16, v14, v13
	v_fma_f32 v17, -v7, v16, v14
	v_fmac_f32_e32 v16, v17, v13
	v_fma_f32 v7, -v7, v16, v14
	v_div_fmas_f32 v7, v7, v13, v16
	v_div_fixup_f32 v7, v7, v15, v2
                                        ; implicit-def: $vgpr2
.LBB12_30:
	s_andn2_saveexec_b64 s[8:9], s[8:9]
; %bb.31:
	s_mov_b32 s10, 0xbe800000
	v_fma_f32 v7, v2, s10, 1.0
; %bb.32:
	s_or_b64 exec, exec, s[8:9]
                                        ; implicit-def: $vgpr2
                                        ; implicit-def: $vgpr13
.LBB12_33:
	s_andn2_saveexec_b64 s[14:15], s[6:7]
	s_cbranch_execz .LBB12_43
; %bb.34:
	v_add_f32_e32 v7, 0xbf490fdb, v13
	v_and_b32_e32 v14, 0x7fffffff, v7
	s_brev_b32 s6, 18
	v_cmp_nlt_f32_e64 s[16:17], |v7|, s6
	v_lshrrev_b32_e32 v19, 23, v14
                                        ; implicit-def: $vgpr15
                                        ; implicit-def: $vgpr16
	s_and_saveexec_b64 s[6:7], s[16:17]
	s_xor_b64 s[18:19], exec, s[6:7]
	s_cbranch_execz .LBB12_36
; %bb.35:
	v_add_u32_e32 v15, 0xffffff88, v19
	v_not_b32_e32 v16, 63
	v_cmp_lt_u32_e32 vcc, 63, v15
	v_cndmask_b32_e32 v16, 0, v16, vcc
	v_add_u32_e32 v15, v16, v15
	v_not_b32_e32 v16, 31
	v_cmp_lt_u32_e64 s[6:7], 31, v15
	v_cndmask_b32_e64 v18, 0, v16, s[6:7]
	v_add_u32_e32 v15, v18, v15
	v_cmp_lt_u32_e64 s[8:9], 31, v15
	v_cndmask_b32_e64 v16, 0, v16, s[8:9]
	v_add_u32_e32 v15, v16, v15
	v_and_b32_e32 v16, 0x7fffff, v14
	v_or_b32_e32 v18, 0x800000, v16
	s_mov_b32 s10, 0xfe5163ab
	v_mad_u64_u32 v[20:21], s[10:11], v18, s10, 0
	v_mov_b32_e32 v17, 0
	v_mov_b32_e32 v16, v21
	s_mov_b32 s10, 0x3c439041
	v_mad_u64_u32 v[22:23], s[10:11], v18, s10, v[16:17]
	v_mov_b32_e32 v16, v23
	s_mov_b32 s10, 0xdb629599
	v_mad_u64_u32 v[24:25], s[10:11], v18, s10, v[16:17]
	;; [unrolled: 3-line block ×6, first 2 shown]
	v_cndmask_b32_e32 v21, v30, v26, vcc
	v_cndmask_b32_e32 v16, v16, v28, vcc
	v_cndmask_b32_e32 v17, v17, v30, vcc
	v_cndmask_b32_e64 v18, v16, v21, s[6:7]
	v_cndmask_b32_e64 v16, v17, v16, s[6:7]
	v_cndmask_b32_e32 v17, v28, v24, vcc
	v_cndmask_b32_e64 v21, v21, v17, s[6:7]
	v_cndmask_b32_e64 v16, v16, v18, s[8:9]
	v_cndmask_b32_e64 v18, v18, v21, s[8:9]
	v_sub_u32_e32 v23, 32, v15
	v_alignbit_b32 v25, v16, v18, v23
	v_cmp_eq_u32_e64 s[10:11], 0, v15
	v_cndmask_b32_e64 v15, v25, v16, s[10:11]
	v_cndmask_b32_e32 v16, v26, v22, vcc
	v_cndmask_b32_e64 v17, v17, v16, s[6:7]
	v_cndmask_b32_e64 v21, v21, v17, s[8:9]
	v_alignbit_b32 v22, v18, v21, v23
	v_cndmask_b32_e64 v18, v22, v18, s[10:11]
	v_bfe_u32 v26, v15, 29, 1
	v_cndmask_b32_e32 v20, v24, v20, vcc
	v_alignbit_b32 v22, v15, v18, 30
	v_sub_u32_e32 v27, 0, v26
	v_cndmask_b32_e64 v16, v16, v20, s[6:7]
	v_xor_b32_e32 v28, v22, v27
	v_cndmask_b32_e64 v16, v17, v16, s[8:9]
	v_alignbit_b32 v17, v21, v16, v23
	v_ffbh_u32_e32 v20, v28
	v_cndmask_b32_e64 v17, v17, v21, s[10:11]
	v_add_u32_e32 v20, 1, v20
	v_cmp_ne_u32_e32 vcc, v22, v27
	v_alignbit_b32 v18, v18, v17, 30
	v_cndmask_b32_e32 v20, 33, v20, vcc
	v_alignbit_b32 v16, v17, v16, 30
	v_xor_b32_e32 v18, v18, v27
	v_sub_u32_e32 v21, 32, v20
	v_xor_b32_e32 v16, v16, v27
	v_alignbit_b32 v22, v28, v18, v21
	v_alignbit_b32 v16, v18, v16, v21
	;; [unrolled: 1-line block ×3, first 2 shown]
	v_ffbh_u32_e32 v18, v17
	v_min_u32_e32 v18, 32, v18
	v_lshrrev_b32_e32 v25, 29, v15
	v_sub_u32_e32 v21, 31, v18
	v_alignbit_b32 v16, v17, v16, v21
	v_lshlrev_b32_e32 v17, 31, v25
	v_or_b32_e32 v21, 0x33800000, v17
	v_add_lshl_u32 v18, v18, v20, 23
	v_lshrrev_b32_e32 v16, 9, v16
	v_sub_u32_e32 v18, v21, v18
	v_or_b32_e32 v16, v18, v16
	v_alignbit_b32 v18, v20, v22, 9
	v_or_b32_e32 v17, v18, v17
	v_xor_b32_e32 v17, 1.0, v17
	s_mov_b32 s6, 0x3fc90fda
	v_mul_f32_e32 v18, 0x3fc90fda, v17
	v_fma_f32 v20, v17, s6, -v18
	v_fmac_f32_e32 v20, 0x33a22168, v17
	v_fmac_f32_e32 v20, 0x3fc90fda, v16
	v_lshrrev_b32_e32 v15, 30, v15
	v_add_f32_e32 v16, v18, v20
	v_add_u32_e32 v15, v26, v15
	s_andn2_saveexec_b64 s[6:7], s[18:19]
	s_branch .LBB12_37
.LBB12_36:
	s_andn2_saveexec_b64 s[6:7], s[18:19]
.LBB12_37:
	s_mov_b32 s8, 0x3f22f983
	v_mul_f32_e64 v15, |v7|, s8
	v_rndne_f32_e32 v17, v15
	s_mov_b32 s8, 0xbfc90fda
	v_cvt_i32_f32_e32 v15, v17
	v_fma_f32 v16, v17, s8, |v7|
	v_fmac_f32_e32 v16, 0xb3a22168, v17
	v_fmac_f32_e32 v16, 0xa7c234c4, v17
; %bb.38:
	s_or_b64 exec, exec, s[6:7]
                                        ; implicit-def: $vgpr17
                                        ; implicit-def: $vgpr18
	s_and_saveexec_b64 s[6:7], s[16:17]
	s_xor_b64 s[16:17], exec, s[6:7]
	s_cbranch_execz .LBB12_40
; %bb.39:
	v_add_u32_e32 v17, 0xffffff88, v19
	v_not_b32_e32 v18, 63
	v_cmp_lt_u32_e32 vcc, 63, v17
	v_cndmask_b32_e32 v18, 0, v18, vcc
	v_add_u32_e32 v17, v18, v17
	v_not_b32_e32 v18, 31
	v_cmp_lt_u32_e64 s[6:7], 31, v17
	v_cndmask_b32_e64 v20, 0, v18, s[6:7]
	v_add_u32_e32 v17, v20, v17
	v_cmp_lt_u32_e64 s[8:9], 31, v17
	v_cndmask_b32_e64 v18, 0, v18, s[8:9]
	v_add_u32_e32 v17, v18, v17
	v_and_b32_e32 v18, 0x7fffff, v14
	v_or_b32_e32 v32, 0x800000, v18
	s_mov_b32 s10, 0xfe5163ab
	v_mad_u64_u32 v[20:21], s[10:11], v32, s10, 0
	v_mov_b32_e32 v19, 0
	v_mov_b32_e32 v18, v21
	s_mov_b32 s10, 0x3c439041
	v_mad_u64_u32 v[22:23], s[10:11], v32, s10, v[18:19]
	v_mov_b32_e32 v18, v23
	s_mov_b32 s10, 0xdb629599
	v_mad_u64_u32 v[24:25], s[10:11], v32, s10, v[18:19]
	;; [unrolled: 3-line block ×6, first 2 shown]
	v_cndmask_b32_e32 v21, v30, v26, vcc
	v_cndmask_b32_e32 v18, v18, v28, vcc
	v_cndmask_b32_e32 v19, v19, v30, vcc
	v_cndmask_b32_e64 v23, v18, v21, s[6:7]
	v_cndmask_b32_e64 v18, v19, v18, s[6:7]
	v_cndmask_b32_e32 v19, v28, v24, vcc
	v_cndmask_b32_e64 v21, v21, v19, s[6:7]
	v_cndmask_b32_e64 v18, v18, v23, s[8:9]
	;; [unrolled: 1-line block ×3, first 2 shown]
	v_sub_u32_e32 v25, 32, v17
	v_alignbit_b32 v27, v18, v23, v25
	v_cmp_eq_u32_e64 s[10:11], 0, v17
	v_cndmask_b32_e64 v17, v27, v18, s[10:11]
	v_cndmask_b32_e32 v18, v26, v22, vcc
	v_cndmask_b32_e64 v19, v19, v18, s[6:7]
	v_cndmask_b32_e64 v21, v21, v19, s[8:9]
	v_alignbit_b32 v22, v23, v21, v25
	v_cndmask_b32_e32 v20, v24, v20, vcc
	v_cndmask_b32_e64 v22, v22, v23, s[10:11]
	v_bfe_u32 v27, v17, 29, 1
	v_cndmask_b32_e64 v18, v18, v20, s[6:7]
	v_alignbit_b32 v23, v17, v22, 30
	v_sub_u32_e32 v28, 0, v27
	v_cndmask_b32_e64 v18, v19, v18, s[8:9]
	v_xor_b32_e32 v29, v23, v28
	v_alignbit_b32 v19, v21, v18, v25
	v_cndmask_b32_e64 v19, v19, v21, s[10:11]
	v_ffbh_u32_e32 v21, v29
	v_add_u32_e32 v21, 1, v21
	v_cmp_ne_u32_e32 vcc, v23, v28
	v_alignbit_b32 v20, v22, v19, 30
	v_cndmask_b32_e32 v21, 33, v21, vcc
	v_alignbit_b32 v18, v19, v18, 30
	v_xor_b32_e32 v20, v20, v28
	v_sub_u32_e32 v22, 32, v21
	v_xor_b32_e32 v18, v18, v28
	v_alignbit_b32 v23, v29, v20, v22
	v_alignbit_b32 v18, v20, v18, v22
	;; [unrolled: 1-line block ×3, first 2 shown]
	v_ffbh_u32_e32 v20, v19
	v_min_u32_e32 v20, 32, v20
	v_lshrrev_b32_e32 v26, 29, v17
	v_sub_u32_e32 v22, 31, v20
	v_alignbit_b32 v18, v19, v18, v22
	v_lshlrev_b32_e32 v19, 31, v26
	v_or_b32_e32 v22, 0x33800000, v19
	v_add_lshl_u32 v20, v20, v21, 23
	v_lshrrev_b32_e32 v18, 9, v18
	v_sub_u32_e32 v20, v22, v20
	v_or_b32_e32 v18, v20, v18
	v_alignbit_b32 v20, v21, v23, 9
	v_or_b32_e32 v19, v20, v19
	v_xor_b32_e32 v19, 1.0, v19
	s_mov_b32 s6, 0x3fc90fda
	v_mul_f32_e32 v20, 0x3fc90fda, v19
	v_fma_f32 v21, v19, s6, -v20
	v_fmac_f32_e32 v21, 0x33a22168, v19
	v_fmac_f32_e32 v21, 0x3fc90fda, v18
	v_lshrrev_b32_e32 v17, 30, v17
	v_add_f32_e32 v18, v20, v21
	v_add_u32_e32 v17, v27, v17
	s_andn2_saveexec_b64 s[6:7], s[16:17]
	s_cbranch_execnz .LBB12_41
	s_branch .LBB12_42
.LBB12_40:
	s_andn2_saveexec_b64 s[6:7], s[16:17]
.LBB12_41:
	s_mov_b32 s8, 0x3f22f983
	v_mul_f32_e64 v17, |v7|, s8
	v_rndne_f32_e32 v19, v17
	s_mov_b32 s8, 0xbfc90fda
	v_cvt_i32_f32_e32 v17, v19
	v_fma_f32 v18, v19, s8, |v7|
	v_fmac_f32_e32 v18, 0xb3a22168, v19
	v_fmac_f32_e32 v18, 0xa7c234c4, v19
.LBB12_42:
	s_or_b64 exec, exec, s[6:7]
	s_mov_b32 s8, 0x41c80000
	v_div_scale_f32 v19, s[6:7], v2, v2, s8
	v_rcp_f32_e32 v20, v19
	v_div_scale_f32 v21, vcc, s8, v2, s8
	v_mov_b32_e32 v27, 0xbf000004
	v_fma_f32 v22, -v19, v20, 1.0
	v_fmac_f32_e32 v20, v22, v20
	v_mul_f32_e32 v22, v21, v20
	v_fma_f32 v23, -v19, v22, v21
	v_fmac_f32_e32 v22, v23, v20
	v_fma_f32 v19, -v19, v22, v21
	v_div_fmas_f32 v19, v19, v20, v22
	v_div_fixup_f32 v2, v19, v2, s8
	v_mov_b32_e32 v19, 0x3a50e985
	v_fmac_f32_e32 v19, 0, v2
	v_mov_b32_e32 v20, 0x3da9a586
	v_fmac_f32_e32 v20, v2, v19
	;; [unrolled: 2-line block ×12, first 2 shown]
	v_fma_f32 v19, v2, v21, 1.0
	v_mov_b32_e32 v21, 0xbc3a3a12
	v_fmac_f32_e32 v21, 0, v2
	v_mov_b32_e32 v22, 0xbfa429da
	v_fmac_f32_e32 v22, v2, v21
	v_mov_b32_e32 v21, 0xc19c6e80
	v_fmac_f32_e32 v21, v2, v22
	v_mov_b32_e32 v22, 0xc2ba697b
	v_fmac_f32_e32 v22, v2, v21
	v_mov_b32_e32 v21, 0xc331ae61
	v_fmac_f32_e32 v21, v2, v22
	v_mov_b32_e32 v22, 0xc31313d7
	v_fmac_f32_e32 v22, v2, v21
	v_mov_b32_e32 v21, 0xc24da463
	v_fmac_f32_e32 v21, v2, v22
	v_mov_b32_e32 v22, 0xc0c19ac7
	v_fmac_f32_e32 v22, v2, v21
	v_mov_b32_e32 v21, 0x4280a2ba
	v_fmac_f32_e32 v21, 0, v2
	v_mov_b32_e32 v23, 0x44561b86
	v_fma_f32 v20, v2, v20, 1.0
	v_fmac_f32_e32 v23, v2, v21
	v_mov_b32_e32 v21, 0x4572a66e
	v_div_scale_f32 v24, s[6:7], v19, v19, v20
	v_fmac_f32_e32 v21, v2, v23
	v_mov_b32_e32 v23, 0x45e243be
	v_rcp_f32_e32 v25, v24
	v_fmac_f32_e32 v23, v2, v21
	v_mov_b32_e32 v21, 0x45b955d1
	v_fmac_f32_e32 v21, v2, v23
	v_mov_b32_e32 v23, 0x4500e17e
	;; [unrolled: 2-line block ×3, first 2 shown]
	v_fmac_f32_e32 v21, v2, v23
	v_fma_f32 v2, -v24, v25, 1.0
	v_fmac_f32_e32 v25, v2, v25
	v_div_scale_f32 v2, vcc, v20, v19, v20
	v_mul_f32_e32 v23, v2, v25
	v_fma_f32 v26, -v24, v23, v2
	v_fmac_f32_e32 v23, v26, v25
	v_fma_f32 v2, -v24, v23, v2
	v_div_fmas_f32 v2, v2, v25, v23
	v_div_fixup_f32 v2, v2, v19, v20
	v_mul_f32_e32 v19, v16, v16
	v_mov_b32_e32 v25, 0xbab64f3b
	v_mov_b32_e32 v23, 0x3c0881c4
	v_fmac_f32_e32 v25, 0x37d75334, v19
	v_mov_b32_e32 v26, 0x3d2aabf7
	v_fmac_f32_e32 v23, 0xb94c1982, v19
	v_mov_b32_e32 v24, 0xbe2aaa9d
	v_fma_f32 v25, v19, v25, v26
	v_fma_f32 v23, v19, v23, v24
	;; [unrolled: 1-line block ×3, first 2 shown]
	v_mul_f32_e32 v23, v19, v23
	v_fma_f32 v19, v19, v25, 1.0
	v_and_b32_e32 v25, 1, v15
	v_fmac_f32_e32 v16, v16, v23
	v_cmp_eq_u32_e32 vcc, 0, v25
	v_lshlrev_b32_e32 v15, 30, v15
	v_cndmask_b32_e64 v16, -v16, v19, vcc
	v_and_b32_e32 v15, 0x80000000, v15
	s_mov_b32 s10, 0xc0a00000
	v_xor_b32_e32 v15, v15, v16
	v_div_scale_f32 v16, s[6:7], v13, v13, s10
	v_rcp_f32_e32 v19, v16
	s_movk_i32 s8, 0x1f8
	v_cmp_class_f32_e64 s[6:7], v7, s8
	v_mov_b32_e32 v20, 0x3c0881c4
	v_fma_f32 v28, -v16, v19, 1.0
	v_fmac_f32_e32 v19, v28, v19
	v_div_scale_f32 v28, vcc, s10, v13, s10
	v_mul_f32_e32 v29, v28, v19
	v_fma_f32 v30, -v16, v29, v28
	v_fmac_f32_e32 v29, v30, v19
	v_fma_f32 v16, -v16, v29, v28
	v_div_scale_f32 v28, s[8:9], v21, v21, v22
	v_rcp_f32_e32 v30, v28
	v_div_fmas_f32 v16, v16, v19, v29
	v_div_fixup_f32 v16, v16, v13, s10
	v_mov_b32_e32 v23, 0xbab64f3b
	v_fma_f32 v19, -v28, v30, 1.0
	v_fmac_f32_e32 v30, v19, v30
	v_div_scale_f32 v19, vcc, v22, v21, v22
	v_mul_f32_e32 v29, v19, v30
	v_fma_f32 v31, -v28, v29, v19
	v_fmac_f32_e32 v29, v31, v30
	v_fma_f32 v19, -v28, v29, v19
	v_div_fmas_f32 v19, v19, v30, v29
	v_div_fixup_f32 v19, v19, v21, v22
	v_mul_f32_e32 v16, v16, v19
	v_mul_f32_e32 v19, v18, v18
	v_fmac_f32_e32 v20, 0xb94c1982, v19
	v_fmac_f32_e32 v24, v19, v20
	v_fmac_f32_e32 v23, 0x37d75334, v19
	v_mul_f32_e32 v20, v19, v24
	v_fmac_f32_e32 v26, v19, v23
	v_fmac_f32_e32 v18, v18, v20
	;; [unrolled: 1-line block ×3, first 2 shown]
	v_and_b32_e32 v20, 1, v17
	v_lshlrev_b32_e32 v17, 30, v17
	v_fma_f32 v19, v19, v27, 1.0
	v_cmp_eq_u32_e32 vcc, 0, v20
	v_and_b32_e32 v17, 0x80000000, v17
	v_xor_b32_e32 v7, v14, v7
	v_cndmask_b32_e32 v18, v19, v18, vcc
	v_xor_b32_e32 v7, v7, v17
	v_mov_b32_e32 v25, 0x7fc00000
	v_xor_b32_e32 v7, v7, v18
	v_cndmask_b32_e64 v15, v25, v15, s[6:7]
	v_cndmask_b32_e64 v7, v25, v7, s[6:7]
	s_mov_b32 s6, 0xf800000
	v_mul_f32_e32 v14, 0x4f800000, v13
	v_cmp_gt_f32_e32 vcc, s6, v13
	v_cndmask_b32_e32 v13, v13, v14, vcc
	v_sqrt_f32_e32 v14, v13
	v_mul_f32_e32 v7, v16, v7
	v_fmac_f32_e32 v7, v2, v15
	v_mul_f32_e32 v2, 0x3f4c422a, v7
	v_add_u32_e32 v7, -1, v14
	v_fma_f32 v15, -v7, v14, v13
	v_cmp_ge_f32_e64 s[6:7], 0, v15
	v_add_u32_e32 v15, 1, v14
	v_cndmask_b32_e64 v7, v14, v7, s[6:7]
	v_fma_f32 v14, -v15, v14, v13
	v_cmp_lt_f32_e64 s[6:7], 0, v14
	v_cndmask_b32_e64 v7, v7, v15, s[6:7]
	v_mul_f32_e32 v14, 0x37800000, v7
	v_cndmask_b32_e32 v7, v7, v14, vcc
	v_mov_b32_e32 v14, 0x260
	v_cmp_class_f32_e32 vcc, v13, v14
	v_cndmask_b32_e32 v7, v7, v13, vcc
	v_div_scale_f32 v13, s[6:7], v7, v7, v2
	v_rcp_f32_e32 v14, v13
	v_fma_f32 v15, -v13, v14, 1.0
	v_fmac_f32_e32 v14, v15, v14
	v_div_scale_f32 v15, vcc, v2, v7, v2
	v_mul_f32_e32 v16, v15, v14
	v_fma_f32 v17, -v13, v16, v15
	v_fmac_f32_e32 v16, v17, v14
	v_fma_f32 v13, -v13, v16, v15
	v_div_fmas_f32 v13, v13, v14, v16
	v_div_fixup_f32 v7, v13, v7, v2
.LBB12_43:
	s_or_b64 exec, exec, s[14:15]
.LBB12_44:
	s_or_b64 exec, exec, s[12:13]
	v_add_u32_e32 v2, 0x200, v5
	v_cmp_lt_i32_e32 vcc, v2, v4
	s_and_saveexec_b64 s[12:13], vcc
	s_cbranch_execz .LBB12_62
; %bb.45:
	s_waitcnt vmcnt(0) lgkmcnt(0)
	v_cmp_gt_f32_e32 vcc, 0, v12
	v_cndmask_b32_e64 v12, v12, -v12, vcc
	s_mov_b32 s6, 0x40a00000
	v_cmp_ge_f32_e32 vcc, s6, v12
	v_mul_f32_e32 v2, v12, v12
	s_and_saveexec_b64 s[6:7], vcc
	s_xor_b64 s[6:7], exec, s[6:7]
	s_cbranch_execz .LBB12_51
; %bb.46:
	s_mov_b32 s8, 0x3727c5ac
	v_cmp_ngt_f32_e32 vcc, s8, v12
	s_and_saveexec_b64 s[8:9], vcc
	s_xor_b64 s[8:9], exec, s[8:9]
	s_cbranch_execz .LBB12_48
; %bb.47:
	v_mov_b32_e32 v8, 0x43f9c815
	v_fmac_f32_e32 v8, 0, v2
	v_mov_b32_e32 v13, 0x4829b65a
	v_fmac_f32_e32 v13, v2, v8
	;; [unrolled: 2-line block ×4, first 2 shown]
	s_mov_b32 s10, 0xcf8ee29d
	v_mul_f32_e32 v12, 0, v2
	v_mul_f32_e32 v13, v2, v13
	s_mov_b32 s11, 0x53f5f59c
	v_pk_add_f32 v[12:13], v[12:13], s[10:11]
	s_mov_b32 s10, 0x53e3ba8e
	s_mov_b32 s11, 0x578d3514
	v_pk_fma_f32 v[12:13], v[2:3], v[12:13], s[10:11] op_sel_hi:[0,1,1]
	s_mov_b32 s10, 0xd762b0a7
	s_mov_b32 s11, 0x5ae20a0c
	v_pk_fma_f32 v[12:13], v[2:3], v[12:13], s[10:11] op_sel_hi:[0,1,1]
	;; [unrolled: 3-line block ×3, first 2 shown]
	s_mov_b32 s10, 0xc0b90fdc
	s_mov_b32 s11, 0xc1f3c525
	v_pk_add_f32 v[14:15], v[2:3], s[10:11] op_sel_hi:[0,1]
	v_mul_f32_e32 v2, v14, v15
	v_mul_f32_e32 v2, v2, v12
	v_div_scale_f32 v8, s[10:11], v13, v13, v2
	v_rcp_f32_e32 v12, v8
	v_fma_f32 v14, -v8, v12, 1.0
	v_fmac_f32_e32 v12, v14, v12
	v_div_scale_f32 v14, vcc, v2, v13, v2
	v_mul_f32_e32 v15, v14, v12
	v_fma_f32 v16, -v8, v15, v14
	v_fmac_f32_e32 v15, v16, v12
	v_fma_f32 v8, -v8, v15, v14
	v_div_fmas_f32 v8, v8, v12, v15
	v_div_fixup_f32 v8, v8, v13, v2
                                        ; implicit-def: $vgpr2
.LBB12_48:
	s_andn2_saveexec_b64 s[8:9], s[8:9]
; %bb.49:
	s_mov_b32 s10, 0xbe800000
	v_fma_f32 v8, v2, s10, 1.0
; %bb.50:
	s_or_b64 exec, exec, s[8:9]
                                        ; implicit-def: $vgpr2
                                        ; implicit-def: $vgpr12
.LBB12_51:
	s_andn2_saveexec_b64 s[14:15], s[6:7]
	s_cbranch_execz .LBB12_61
; %bb.52:
	v_add_f32_e32 v8, 0xbf490fdb, v12
	v_and_b32_e32 v13, 0x7fffffff, v8
	s_brev_b32 s6, 18
	v_cmp_nlt_f32_e64 s[16:17], |v8|, s6
	v_lshrrev_b32_e32 v18, 23, v13
                                        ; implicit-def: $vgpr14
                                        ; implicit-def: $vgpr15
	s_and_saveexec_b64 s[6:7], s[16:17]
	s_xor_b64 s[18:19], exec, s[6:7]
	s_cbranch_execz .LBB12_54
; %bb.53:
	v_add_u32_e32 v14, 0xffffff88, v18
	v_not_b32_e32 v16, 63
	v_cmp_lt_u32_e32 vcc, 63, v14
	v_cndmask_b32_e32 v16, 0, v16, vcc
	v_add_u32_e32 v14, v16, v14
	v_not_b32_e32 v16, 31
	v_cmp_lt_u32_e64 s[6:7], 31, v14
	v_cndmask_b32_e64 v17, 0, v16, s[6:7]
	v_add_u32_e32 v14, v17, v14
	v_cmp_lt_u32_e64 s[8:9], 31, v14
	v_cndmask_b32_e64 v16, 0, v16, s[8:9]
	v_add_u32_e32 v19, v16, v14
	v_and_b32_e32 v14, 0x7fffff, v13
	v_or_b32_e32 v30, 0x800000, v14
	s_mov_b32 s10, 0xfe5163ab
	v_mad_u64_u32 v[16:17], s[10:11], v30, s10, 0
	v_mov_b32_e32 v15, 0
	v_mov_b32_e32 v14, v17
	s_mov_b32 s10, 0x3c439041
	v_mad_u64_u32 v[20:21], s[10:11], v30, s10, v[14:15]
	v_mov_b32_e32 v14, v21
	s_mov_b32 s10, 0xdb629599
	v_mad_u64_u32 v[22:23], s[10:11], v30, s10, v[14:15]
	;; [unrolled: 3-line block ×6, first 2 shown]
	v_cndmask_b32_e32 v17, v28, v24, vcc
	v_cndmask_b32_e32 v14, v14, v26, vcc
	;; [unrolled: 1-line block ×3, first 2 shown]
	v_cndmask_b32_e64 v21, v14, v17, s[6:7]
	v_cndmask_b32_e64 v14, v15, v14, s[6:7]
	v_cndmask_b32_e32 v15, v26, v22, vcc
	v_cndmask_b32_e64 v17, v17, v15, s[6:7]
	v_sub_u32_e32 v23, 32, v19
	v_cmp_eq_u32_e64 s[10:11], 0, v19
	v_cndmask_b32_e32 v19, v24, v20, vcc
	v_cndmask_b32_e64 v14, v14, v21, s[8:9]
	v_cndmask_b32_e64 v21, v21, v17, s[8:9]
	;; [unrolled: 1-line block ×3, first 2 shown]
	v_alignbit_b32 v25, v14, v21, v23
	v_cndmask_b32_e64 v17, v17, v15, s[8:9]
	v_cndmask_b32_e64 v14, v25, v14, s[10:11]
	v_alignbit_b32 v20, v21, v17, v23
	v_cndmask_b32_e64 v20, v20, v21, s[10:11]
	v_bfe_u32 v25, v14, 29, 1
	v_cndmask_b32_e32 v16, v22, v16, vcc
	v_alignbit_b32 v21, v14, v20, 30
	v_sub_u32_e32 v26, 0, v25
	v_cndmask_b32_e64 v16, v19, v16, s[6:7]
	v_xor_b32_e32 v27, v21, v26
	v_cndmask_b32_e64 v15, v15, v16, s[8:9]
	v_alignbit_b32 v16, v17, v15, v23
	v_ffbh_u32_e32 v19, v27
	v_cndmask_b32_e64 v16, v16, v17, s[10:11]
	v_add_u32_e32 v19, 1, v19
	v_cmp_ne_u32_e32 vcc, v21, v26
	v_alignbit_b32 v17, v20, v16, 30
	v_cndmask_b32_e32 v19, 33, v19, vcc
	v_alignbit_b32 v15, v16, v15, 30
	v_xor_b32_e32 v17, v17, v26
	v_sub_u32_e32 v20, 32, v19
	v_xor_b32_e32 v15, v15, v26
	v_alignbit_b32 v21, v27, v17, v20
	v_alignbit_b32 v15, v17, v15, v20
	;; [unrolled: 1-line block ×3, first 2 shown]
	v_ffbh_u32_e32 v17, v16
	v_min_u32_e32 v17, 32, v17
	v_lshrrev_b32_e32 v24, 29, v14
	v_sub_u32_e32 v20, 31, v17
	v_alignbit_b32 v15, v16, v15, v20
	v_lshlrev_b32_e32 v16, 31, v24
	v_or_b32_e32 v20, 0x33800000, v16
	v_add_lshl_u32 v17, v17, v19, 23
	v_lshrrev_b32_e32 v15, 9, v15
	v_sub_u32_e32 v17, v20, v17
	v_or_b32_e32 v15, v17, v15
	v_alignbit_b32 v17, v19, v21, 9
	v_or_b32_e32 v16, v17, v16
	v_xor_b32_e32 v16, 1.0, v16
	s_mov_b32 s6, 0x3fc90fda
	v_mul_f32_e32 v17, 0x3fc90fda, v16
	v_fma_f32 v19, v16, s6, -v17
	v_fmac_f32_e32 v19, 0x33a22168, v16
	v_fmac_f32_e32 v19, 0x3fc90fda, v15
	v_lshrrev_b32_e32 v14, 30, v14
	v_add_f32_e32 v15, v17, v19
	v_add_u32_e32 v14, v25, v14
	s_andn2_saveexec_b64 s[6:7], s[18:19]
	s_branch .LBB12_55
.LBB12_54:
	s_andn2_saveexec_b64 s[6:7], s[18:19]
.LBB12_55:
	s_mov_b32 s8, 0x3f22f983
	v_mul_f32_e64 v14, |v8|, s8
	v_rndne_f32_e32 v16, v14
	s_mov_b32 s8, 0xbfc90fda
	v_cvt_i32_f32_e32 v14, v16
	v_fma_f32 v15, v16, s8, |v8|
	v_fmac_f32_e32 v15, 0xb3a22168, v16
	v_fmac_f32_e32 v15, 0xa7c234c4, v16
; %bb.56:
	s_or_b64 exec, exec, s[6:7]
                                        ; implicit-def: $vgpr16
                                        ; implicit-def: $vgpr17
	s_and_saveexec_b64 s[6:7], s[16:17]
	s_xor_b64 s[16:17], exec, s[6:7]
	s_cbranch_execz .LBB12_58
; %bb.57:
	v_add_u32_e32 v16, 0xffffff88, v18
	v_not_b32_e32 v18, 63
	v_cmp_lt_u32_e32 vcc, 63, v16
	v_cndmask_b32_e32 v18, 0, v18, vcc
	v_add_u32_e32 v16, v18, v16
	v_not_b32_e32 v18, 31
	v_cmp_lt_u32_e64 s[6:7], 31, v16
	v_cndmask_b32_e64 v19, 0, v18, s[6:7]
	v_add_u32_e32 v16, v19, v16
	v_cmp_lt_u32_e64 s[8:9], 31, v16
	v_cndmask_b32_e64 v18, 0, v18, s[8:9]
	v_add_u32_e32 v30, v18, v16
	v_and_b32_e32 v16, 0x7fffff, v13
	v_or_b32_e32 v31, 0x800000, v16
	s_mov_b32 s10, 0xfe5163ab
	v_mad_u64_u32 v[18:19], s[10:11], v31, s10, 0
	v_mov_b32_e32 v17, 0
	v_mov_b32_e32 v16, v19
	s_mov_b32 s10, 0x3c439041
	v_mad_u64_u32 v[20:21], s[10:11], v31, s10, v[16:17]
	v_mov_b32_e32 v16, v21
	s_mov_b32 s10, 0xdb629599
	v_mad_u64_u32 v[22:23], s[10:11], v31, s10, v[16:17]
	v_mov_b32_e32 v16, v23
	s_mov_b32 s10, 0xf534ddc0
	v_mad_u64_u32 v[24:25], s[10:11], v31, s10, v[16:17]
	v_mov_b32_e32 v16, v25
	s_mov_b32 s10, 0xfc2757d1
	v_mad_u64_u32 v[26:27], s[10:11], v31, s10, v[16:17]
	v_mov_b32_e32 v16, v27
	s_mov_b32 s10, 0x4e441529
	v_mad_u64_u32 v[28:29], s[10:11], v31, s10, v[16:17]
	v_mov_b32_e32 v16, v29
	s_mov_b32 s10, 0xa2f9836e
	v_mad_u64_u32 v[16:17], s[10:11], v31, s10, v[16:17]
	v_cndmask_b32_e32 v19, v28, v24, vcc
	v_cndmask_b32_e32 v16, v16, v26, vcc
	;; [unrolled: 1-line block ×3, first 2 shown]
	v_cndmask_b32_e64 v21, v16, v19, s[6:7]
	v_cndmask_b32_e64 v16, v17, v16, s[6:7]
	v_cndmask_b32_e32 v17, v26, v22, vcc
	v_cndmask_b32_e64 v19, v19, v17, s[6:7]
	v_cndmask_b32_e32 v20, v24, v20, vcc
	v_cndmask_b32_e64 v16, v16, v21, s[8:9]
	v_cndmask_b32_e64 v21, v21, v19, s[8:9]
	v_sub_u32_e32 v23, 32, v30
	v_cndmask_b32_e64 v17, v17, v20, s[6:7]
	v_alignbit_b32 v25, v16, v21, v23
	v_cmp_eq_u32_e64 s[10:11], 0, v30
	v_cndmask_b32_e64 v19, v19, v17, s[8:9]
	v_cndmask_b32_e64 v16, v25, v16, s[10:11]
	v_alignbit_b32 v24, v21, v19, v23
	v_cndmask_b32_e64 v21, v24, v21, s[10:11]
	v_bfe_u32 v26, v16, 29, 1
	v_cndmask_b32_e32 v18, v22, v18, vcc
	v_alignbit_b32 v24, v16, v21, 30
	v_sub_u32_e32 v27, 0, v26
	v_cndmask_b32_e64 v18, v20, v18, s[6:7]
	v_xor_b32_e32 v28, v24, v27
	v_cndmask_b32_e64 v17, v17, v18, s[8:9]
	v_alignbit_b32 v18, v19, v17, v23
	v_ffbh_u32_e32 v20, v28
	v_cndmask_b32_e64 v18, v18, v19, s[10:11]
	v_add_u32_e32 v20, 1, v20
	v_cmp_ne_u32_e32 vcc, v24, v27
	v_alignbit_b32 v19, v21, v18, 30
	v_cndmask_b32_e32 v20, 33, v20, vcc
	v_alignbit_b32 v17, v18, v17, 30
	v_xor_b32_e32 v19, v19, v27
	v_sub_u32_e32 v21, 32, v20
	v_xor_b32_e32 v17, v17, v27
	v_alignbit_b32 v22, v28, v19, v21
	v_alignbit_b32 v17, v19, v17, v21
	;; [unrolled: 1-line block ×3, first 2 shown]
	v_ffbh_u32_e32 v19, v18
	v_min_u32_e32 v19, 32, v19
	v_lshrrev_b32_e32 v25, 29, v16
	v_sub_u32_e32 v21, 31, v19
	v_alignbit_b32 v17, v18, v17, v21
	v_lshlrev_b32_e32 v18, 31, v25
	v_or_b32_e32 v21, 0x33800000, v18
	v_add_lshl_u32 v19, v19, v20, 23
	v_lshrrev_b32_e32 v17, 9, v17
	v_sub_u32_e32 v19, v21, v19
	v_or_b32_e32 v17, v19, v17
	v_alignbit_b32 v19, v20, v22, 9
	v_or_b32_e32 v18, v19, v18
	v_xor_b32_e32 v18, 1.0, v18
	s_mov_b32 s6, 0x3fc90fda
	v_mul_f32_e32 v19, 0x3fc90fda, v18
	v_fma_f32 v20, v18, s6, -v19
	v_fmac_f32_e32 v20, 0x33a22168, v18
	v_fmac_f32_e32 v20, 0x3fc90fda, v17
	v_lshrrev_b32_e32 v16, 30, v16
	v_add_f32_e32 v17, v19, v20
	v_add_u32_e32 v16, v26, v16
	s_andn2_saveexec_b64 s[6:7], s[16:17]
	s_cbranch_execnz .LBB12_59
	s_branch .LBB12_60
.LBB12_58:
	s_andn2_saveexec_b64 s[6:7], s[16:17]
.LBB12_59:
	s_mov_b32 s8, 0x3f22f983
	v_mul_f32_e64 v16, |v8|, s8
	v_rndne_f32_e32 v18, v16
	s_mov_b32 s8, 0xbfc90fda
	v_cvt_i32_f32_e32 v16, v18
	v_fma_f32 v17, v18, s8, |v8|
	v_fmac_f32_e32 v17, 0xb3a22168, v18
	v_fmac_f32_e32 v17, 0xa7c234c4, v18
.LBB12_60:
	s_or_b64 exec, exec, s[6:7]
	s_mov_b32 s8, 0x41c80000
	v_div_scale_f32 v18, s[6:7], v2, v2, s8
	v_rcp_f32_e32 v19, v18
	v_div_scale_f32 v20, vcc, s8, v2, s8
	v_mov_b32_e32 v26, 0xbf000004
	v_fma_f32 v21, -v18, v19, 1.0
	v_fmac_f32_e32 v19, v21, v19
	v_mul_f32_e32 v21, v20, v19
	v_fma_f32 v22, -v18, v21, v20
	v_fmac_f32_e32 v21, v22, v19
	v_fma_f32 v18, -v18, v21, v20
	v_div_fmas_f32 v18, v18, v19, v21
	v_div_fixup_f32 v2, v18, v2, s8
	v_mov_b32_e32 v18, 0x3a50e985
	v_fmac_f32_e32 v18, 0, v2
	v_mov_b32_e32 v19, 0x3da9a586
	v_fmac_f32_e32 v19, v2, v18
	;; [unrolled: 2-line block ×12, first 2 shown]
	v_fma_f32 v18, v2, v20, 1.0
	v_mov_b32_e32 v20, 0xbc3a3a12
	v_fmac_f32_e32 v20, 0, v2
	v_mov_b32_e32 v21, 0xbfa429da
	v_fmac_f32_e32 v21, v2, v20
	;; [unrolled: 2-line block ×9, first 2 shown]
	v_mov_b32_e32 v22, 0x44561b86
	v_fma_f32 v19, v2, v19, 1.0
	v_fmac_f32_e32 v22, v2, v20
	v_mov_b32_e32 v20, 0x4572a66e
	v_div_scale_f32 v23, s[6:7], v18, v18, v19
	v_fmac_f32_e32 v20, v2, v22
	v_mov_b32_e32 v22, 0x45e243be
	v_rcp_f32_e32 v24, v23
	v_fmac_f32_e32 v22, v2, v20
	v_mov_b32_e32 v20, 0x45b955d1
	v_fmac_f32_e32 v20, v2, v22
	v_mov_b32_e32 v22, 0x4500e17e
	;; [unrolled: 2-line block ×3, first 2 shown]
	v_fmac_f32_e32 v20, v2, v22
	v_fma_f32 v2, -v23, v24, 1.0
	v_fmac_f32_e32 v24, v2, v24
	v_div_scale_f32 v2, vcc, v19, v18, v19
	v_mul_f32_e32 v22, v2, v24
	v_fma_f32 v25, -v23, v22, v2
	v_fmac_f32_e32 v22, v25, v24
	v_fma_f32 v2, -v23, v22, v2
	v_div_fmas_f32 v2, v2, v24, v22
	v_div_fixup_f32 v2, v2, v18, v19
	v_mul_f32_e32 v18, v15, v15
	v_mov_b32_e32 v24, 0xbab64f3b
	v_mov_b32_e32 v22, 0x3c0881c4
	v_fmac_f32_e32 v24, 0x37d75334, v18
	v_mov_b32_e32 v25, 0x3d2aabf7
	v_fmac_f32_e32 v22, 0xb94c1982, v18
	v_mov_b32_e32 v23, 0xbe2aaa9d
	v_fma_f32 v24, v18, v24, v25
	v_fma_f32 v22, v18, v22, v23
	;; [unrolled: 1-line block ×3, first 2 shown]
	v_mul_f32_e32 v22, v18, v22
	v_fma_f32 v18, v18, v24, 1.0
	v_and_b32_e32 v24, 1, v14
	v_fmac_f32_e32 v15, v15, v22
	v_cmp_eq_u32_e32 vcc, 0, v24
	v_lshlrev_b32_e32 v14, 30, v14
	v_cndmask_b32_e64 v15, -v15, v18, vcc
	v_and_b32_e32 v14, 0x80000000, v14
	s_mov_b32 s10, 0xc0a00000
	v_xor_b32_e32 v14, v14, v15
	v_div_scale_f32 v15, s[6:7], v12, v12, s10
	v_rcp_f32_e32 v18, v15
	s_movk_i32 s8, 0x1f8
	v_cmp_class_f32_e64 s[6:7], v8, s8
	v_mov_b32_e32 v19, 0x3c0881c4
	v_fma_f32 v27, -v15, v18, 1.0
	v_fmac_f32_e32 v18, v27, v18
	v_div_scale_f32 v27, vcc, s10, v12, s10
	v_mul_f32_e32 v28, v27, v18
	v_fma_f32 v29, -v15, v28, v27
	v_fmac_f32_e32 v28, v29, v18
	v_fma_f32 v15, -v15, v28, v27
	v_div_scale_f32 v27, s[8:9], v20, v20, v21
	v_rcp_f32_e32 v29, v27
	v_div_fmas_f32 v15, v15, v18, v28
	v_div_fixup_f32 v15, v15, v12, s10
	v_mov_b32_e32 v22, 0xbab64f3b
	v_fma_f32 v18, -v27, v29, 1.0
	v_fmac_f32_e32 v29, v18, v29
	v_div_scale_f32 v18, vcc, v21, v20, v21
	v_mul_f32_e32 v28, v18, v29
	v_fma_f32 v30, -v27, v28, v18
	v_fmac_f32_e32 v28, v30, v29
	v_fma_f32 v18, -v27, v28, v18
	v_div_fmas_f32 v18, v18, v29, v28
	v_div_fixup_f32 v18, v18, v20, v21
	v_mul_f32_e32 v15, v15, v18
	v_mul_f32_e32 v18, v17, v17
	v_fmac_f32_e32 v19, 0xb94c1982, v18
	v_fmac_f32_e32 v23, v18, v19
	;; [unrolled: 1-line block ×3, first 2 shown]
	v_mul_f32_e32 v19, v18, v23
	v_fmac_f32_e32 v25, v18, v22
	v_fmac_f32_e32 v17, v17, v19
	;; [unrolled: 1-line block ×3, first 2 shown]
	v_and_b32_e32 v19, 1, v16
	v_lshlrev_b32_e32 v16, 30, v16
	v_fma_f32 v18, v18, v26, 1.0
	v_cmp_eq_u32_e32 vcc, 0, v19
	v_and_b32_e32 v16, 0x80000000, v16
	v_xor_b32_e32 v8, v13, v8
	v_cndmask_b32_e32 v17, v18, v17, vcc
	v_xor_b32_e32 v8, v8, v16
	v_mov_b32_e32 v24, 0x7fc00000
	v_xor_b32_e32 v8, v8, v17
	v_cndmask_b32_e64 v14, v24, v14, s[6:7]
	v_cndmask_b32_e64 v8, v24, v8, s[6:7]
	s_mov_b32 s6, 0xf800000
	v_mul_f32_e32 v13, 0x4f800000, v12
	v_cmp_gt_f32_e32 vcc, s6, v12
	v_cndmask_b32_e32 v12, v12, v13, vcc
	v_sqrt_f32_e32 v13, v12
	v_mul_f32_e32 v8, v15, v8
	v_fmac_f32_e32 v8, v2, v14
	v_mul_f32_e32 v2, 0x3f4c422a, v8
	v_add_u32_e32 v8, -1, v13
	v_fma_f32 v14, -v8, v13, v12
	v_cmp_ge_f32_e64 s[6:7], 0, v14
	v_add_u32_e32 v14, 1, v13
	v_cndmask_b32_e64 v8, v13, v8, s[6:7]
	v_fma_f32 v13, -v14, v13, v12
	v_cmp_lt_f32_e64 s[6:7], 0, v13
	v_cndmask_b32_e64 v8, v8, v14, s[6:7]
	v_mul_f32_e32 v13, 0x37800000, v8
	v_cndmask_b32_e32 v8, v8, v13, vcc
	v_mov_b32_e32 v13, 0x260
	v_cmp_class_f32_e32 vcc, v12, v13
	v_cndmask_b32_e32 v8, v8, v12, vcc
	v_div_scale_f32 v12, s[6:7], v8, v8, v2
	v_rcp_f32_e32 v13, v12
	v_fma_f32 v14, -v12, v13, 1.0
	v_fmac_f32_e32 v13, v14, v13
	v_div_scale_f32 v14, vcc, v2, v8, v2
	v_mul_f32_e32 v15, v14, v13
	v_fma_f32 v16, -v12, v15, v14
	v_fmac_f32_e32 v15, v16, v13
	v_fma_f32 v12, -v12, v15, v14
	v_div_fmas_f32 v12, v12, v13, v15
	v_div_fixup_f32 v8, v12, v8, v2
.LBB12_61:
	s_or_b64 exec, exec, s[14:15]
.LBB12_62:
	s_or_b64 exec, exec, s[12:13]
	v_add_u32_e32 v2, 0x300, v5
	v_cmp_lt_i32_e32 vcc, v2, v4
	s_and_saveexec_b64 s[12:13], vcc
	s_cbranch_execz .LBB12_72
; %bb.63:
	s_waitcnt vmcnt(0) lgkmcnt(0)
	v_cmp_gt_f32_e32 vcc, 0, v11
	v_cndmask_b32_e64 v11, v11, -v11, vcc
	s_mov_b32 s6, 0x40a00000
	v_cmp_ge_f32_e32 vcc, s6, v11
	v_mul_f32_e32 v2, v11, v11
	s_and_saveexec_b64 s[6:7], vcc
	s_xor_b64 s[6:7], exec, s[6:7]
	s_cbranch_execz .LBB12_69
; %bb.64:
	s_mov_b32 s8, 0x3727c5ac
	v_cmp_ngt_f32_e32 vcc, s8, v11
	s_and_saveexec_b64 s[8:9], vcc
	s_xor_b64 s[8:9], exec, s[8:9]
	s_cbranch_execz .LBB12_66
; %bb.65:
	v_mov_b32_e32 v9, 0x43f9c815
	v_fmac_f32_e32 v9, 0, v2
	v_mov_b32_e32 v11, 0x4829b65a
	v_fmac_f32_e32 v11, v2, v9
	;; [unrolled: 2-line block ×4, first 2 shown]
	s_mov_b32 s10, 0xcf8ee29d
	v_mul_f32_e32 v12, 0, v2
	v_mul_f32_e32 v13, v2, v11
	s_mov_b32 s11, 0x53f5f59c
	v_pk_add_f32 v[12:13], v[12:13], s[10:11]
	s_mov_b32 s10, 0x53e3ba8e
	s_mov_b32 s11, 0x578d3514
	v_pk_fma_f32 v[12:13], v[2:3], v[12:13], s[10:11] op_sel_hi:[0,1,1]
	s_mov_b32 s10, 0xd762b0a7
	s_mov_b32 s11, 0x5ae20a0c
	v_pk_fma_f32 v[12:13], v[2:3], v[12:13], s[10:11] op_sel_hi:[0,1,1]
	;; [unrolled: 3-line block ×3, first 2 shown]
	s_mov_b32 s10, 0xc0b90fdc
	s_mov_b32 s11, 0xc1f3c525
	v_pk_add_f32 v[14:15], v[2:3], s[10:11] op_sel_hi:[0,1]
	v_mul_f32_e32 v2, v14, v15
	v_mul_f32_e32 v2, v2, v12
	v_div_scale_f32 v9, s[10:11], v13, v13, v2
	v_rcp_f32_e32 v11, v9
	v_fma_f32 v12, -v9, v11, 1.0
	v_fmac_f32_e32 v11, v12, v11
	v_div_scale_f32 v12, vcc, v2, v13, v2
	v_mul_f32_e32 v14, v12, v11
	v_fma_f32 v15, -v9, v14, v12
	v_fmac_f32_e32 v14, v15, v11
	v_fma_f32 v9, -v9, v14, v12
	v_div_fmas_f32 v9, v9, v11, v14
	v_div_fixup_f32 v9, v9, v13, v2
                                        ; implicit-def: $vgpr2
.LBB12_66:
	s_andn2_saveexec_b64 s[8:9], s[8:9]
; %bb.67:
	s_mov_b32 s10, 0xbe800000
	v_fma_f32 v9, v2, s10, 1.0
; %bb.68:
	s_or_b64 exec, exec, s[8:9]
                                        ; implicit-def: $vgpr2
                                        ; implicit-def: $vgpr11
.LBB12_69:
	s_andn2_saveexec_b64 s[14:15], s[6:7]
	s_cbranch_execz .LBB12_84
; %bb.70:
	v_add_f32_e32 v9, 0xbf490fdb, v11
	v_and_b32_e32 v12, 0x7fffffff, v9
	s_brev_b32 s6, 18
	v_cmp_nlt_f32_e64 s[16:17], |v9|, s6
	v_lshrrev_b32_e32 v17, 23, v12
                                        ; implicit-def: $vgpr13
                                        ; implicit-def: $vgpr14
	s_and_saveexec_b64 s[6:7], s[16:17]
	s_xor_b64 s[18:19], exec, s[6:7]
	s_cbranch_execz .LBB12_77
; %bb.71:
	v_add_u32_e32 v13, 0xffffff88, v17
	v_not_b32_e32 v14, 63
	v_cmp_lt_u32_e32 vcc, 63, v13
	v_cndmask_b32_e32 v14, 0, v14, vcc
	v_add_u32_e32 v13, v14, v13
	v_not_b32_e32 v14, 31
	v_cmp_lt_u32_e64 s[6:7], 31, v13
	v_cndmask_b32_e64 v16, 0, v14, s[6:7]
	v_add_u32_e32 v13, v16, v13
	v_cmp_lt_u32_e64 s[8:9], 31, v13
	v_cndmask_b32_e64 v14, 0, v14, s[8:9]
	v_add_u32_e32 v13, v14, v13
	v_and_b32_e32 v14, 0x7fffff, v12
	v_or_b32_e32 v16, 0x800000, v14
	s_mov_b32 s10, 0xfe5163ab
	v_mad_u64_u32 v[18:19], s[10:11], v16, s10, 0
	v_mov_b32_e32 v15, 0
	v_mov_b32_e32 v14, v19
	s_mov_b32 s10, 0x3c439041
	v_mad_u64_u32 v[20:21], s[10:11], v16, s10, v[14:15]
	v_mov_b32_e32 v14, v21
	s_mov_b32 s10, 0xdb629599
	v_mad_u64_u32 v[22:23], s[10:11], v16, s10, v[14:15]
	;; [unrolled: 3-line block ×6, first 2 shown]
	v_cndmask_b32_e32 v19, v28, v24, vcc
	v_cndmask_b32_e32 v14, v14, v26, vcc
	;; [unrolled: 1-line block ×3, first 2 shown]
	v_cndmask_b32_e64 v16, v14, v19, s[6:7]
	v_cndmask_b32_e64 v14, v15, v14, s[6:7]
	v_cndmask_b32_e32 v15, v26, v22, vcc
	v_cndmask_b32_e64 v19, v19, v15, s[6:7]
	v_cndmask_b32_e64 v14, v14, v16, s[8:9]
	;; [unrolled: 1-line block ×3, first 2 shown]
	v_sub_u32_e32 v21, 32, v13
	v_alignbit_b32 v23, v14, v16, v21
	v_cmp_eq_u32_e64 s[10:11], 0, v13
	v_cndmask_b32_e64 v13, v23, v14, s[10:11]
	v_cndmask_b32_e32 v14, v24, v20, vcc
	v_cndmask_b32_e64 v15, v15, v14, s[6:7]
	v_cndmask_b32_e64 v19, v19, v15, s[8:9]
	v_alignbit_b32 v20, v16, v19, v21
	v_cndmask_b32_e64 v16, v20, v16, s[10:11]
	v_bfe_u32 v24, v13, 29, 1
	v_cndmask_b32_e32 v18, v22, v18, vcc
	v_alignbit_b32 v20, v13, v16, 30
	v_sub_u32_e32 v25, 0, v24
	v_cndmask_b32_e64 v14, v14, v18, s[6:7]
	v_xor_b32_e32 v26, v20, v25
	v_cndmask_b32_e64 v14, v15, v14, s[8:9]
	v_alignbit_b32 v15, v19, v14, v21
	v_ffbh_u32_e32 v18, v26
	v_cndmask_b32_e64 v15, v15, v19, s[10:11]
	v_add_u32_e32 v18, 1, v18
	v_cmp_ne_u32_e32 vcc, v20, v25
	v_alignbit_b32 v16, v16, v15, 30
	v_cndmask_b32_e32 v18, 33, v18, vcc
	v_alignbit_b32 v14, v15, v14, 30
	v_xor_b32_e32 v16, v16, v25
	v_sub_u32_e32 v19, 32, v18
	v_xor_b32_e32 v14, v14, v25
	v_alignbit_b32 v20, v26, v16, v19
	v_alignbit_b32 v14, v16, v14, v19
	;; [unrolled: 1-line block ×3, first 2 shown]
	v_ffbh_u32_e32 v16, v15
	v_min_u32_e32 v16, 32, v16
	v_lshrrev_b32_e32 v23, 29, v13
	v_sub_u32_e32 v19, 31, v16
	v_alignbit_b32 v14, v15, v14, v19
	v_lshlrev_b32_e32 v15, 31, v23
	v_or_b32_e32 v19, 0x33800000, v15
	v_add_lshl_u32 v16, v16, v18, 23
	v_lshrrev_b32_e32 v14, 9, v14
	v_sub_u32_e32 v16, v19, v16
	v_or_b32_e32 v14, v16, v14
	v_alignbit_b32 v16, v18, v20, 9
	v_or_b32_e32 v15, v16, v15
	v_xor_b32_e32 v15, 1.0, v15
	s_mov_b32 s6, 0x3fc90fda
	v_mul_f32_e32 v16, 0x3fc90fda, v15
	v_fma_f32 v18, v15, s6, -v16
	v_fmac_f32_e32 v18, 0x33a22168, v15
	v_fmac_f32_e32 v18, 0x3fc90fda, v14
	v_lshrrev_b32_e32 v13, 30, v13
	v_add_f32_e32 v14, v16, v18
	v_add_u32_e32 v13, v24, v13
	s_andn2_saveexec_b64 s[6:7], s[18:19]
	s_branch .LBB12_78
.LBB12_72:
	s_or_b64 exec, exec, s[12:13]
	s_and_saveexec_b64 s[6:7], s[4:5]
	s_xor_b64 s[4:5], exec, s[6:7]
	s_cbranch_execz .LBB12_85
.LBB12_73:
	s_waitcnt vmcnt(0) lgkmcnt(0)
	v_mov_b32_e32 v11, 0
	v_lshlrev_b64 v[10:11], 2, v[10:11]
	v_add_co_u32_e32 v10, vcc, v0, v10
	v_addc_co_u32_e32 v11, vcc, v1, v11, vcc
	v_mov_b32_e32 v5, v3
	flat_store_dword v[10:11], v6
	s_or_b64 exec, exec, s[4:5]
	v_cmp_lt_i32_e32 vcc, v5, v4
	s_and_saveexec_b64 s[4:5], vcc
	s_cbranch_execnz .LBB12_86
.LBB12_74:
	s_or_b64 exec, exec, s[4:5]
	v_cmp_lt_i32_e32 vcc, v5, v4
	s_and_saveexec_b64 s[4:5], vcc
	s_cbranch_execz .LBB12_87
.LBB12_75:
	v_add_u32_e32 v2, s20, v5
	v_mov_b32_e32 v3, 0
	v_lshlrev_b64 v[2:3], 2, v[2:3]
	v_add_co_u32_e32 v2, vcc, v0, v2
	v_addc_co_u32_e32 v3, vcc, v1, v3, vcc
	v_add_u32_e32 v5, 0x100, v5
	flat_store_dword v[2:3], v8
	s_or_b64 exec, exec, s[4:5]
	v_cmp_lt_i32_e32 vcc, v5, v4
	s_and_saveexec_b64 s[4:5], vcc
	s_cbranch_execnz .LBB12_88
.LBB12_76:
	s_or_b64 exec, exec, s[4:5]
	s_waitcnt vmcnt(0) lgkmcnt(0)
	s_setpc_b64 s[30:31]
.LBB12_77:
	s_andn2_saveexec_b64 s[6:7], s[18:19]
.LBB12_78:
	s_mov_b32 s8, 0x3f22f983
	v_mul_f32_e64 v13, |v9|, s8
	v_rndne_f32_e32 v15, v13
	s_mov_b32 s8, 0xbfc90fda
	v_cvt_i32_f32_e32 v13, v15
	v_fma_f32 v14, v15, s8, |v9|
	v_fmac_f32_e32 v14, 0xb3a22168, v15
	v_fmac_f32_e32 v14, 0xa7c234c4, v15
; %bb.79:
	s_or_b64 exec, exec, s[6:7]
                                        ; implicit-def: $vgpr15
                                        ; implicit-def: $vgpr16
	s_and_saveexec_b64 s[6:7], s[16:17]
	s_xor_b64 s[16:17], exec, s[6:7]
	s_cbranch_execz .LBB12_81
; %bb.80:
	v_add_u32_e32 v15, 0xffffff88, v17
	v_not_b32_e32 v16, 63
	v_cmp_lt_u32_e32 vcc, 63, v15
	v_cndmask_b32_e32 v16, 0, v16, vcc
	v_add_u32_e32 v15, v16, v15
	v_not_b32_e32 v16, 31
	v_cmp_lt_u32_e64 s[6:7], 31, v15
	v_cndmask_b32_e64 v18, 0, v16, s[6:7]
	v_add_u32_e32 v15, v18, v15
	v_cmp_lt_u32_e64 s[8:9], 31, v15
	v_cndmask_b32_e64 v16, 0, v16, s[8:9]
	v_add_u32_e32 v15, v16, v15
	v_and_b32_e32 v16, 0x7fffff, v12
	v_or_b32_e32 v30, 0x800000, v16
	s_mov_b32 s10, 0xfe5163ab
	v_mad_u64_u32 v[18:19], s[10:11], v30, s10, 0
	v_mov_b32_e32 v17, 0
	v_mov_b32_e32 v16, v19
	s_mov_b32 s10, 0x3c439041
	v_mad_u64_u32 v[20:21], s[10:11], v30, s10, v[16:17]
	v_mov_b32_e32 v16, v21
	s_mov_b32 s10, 0xdb629599
	v_mad_u64_u32 v[22:23], s[10:11], v30, s10, v[16:17]
	;; [unrolled: 3-line block ×6, first 2 shown]
	v_cndmask_b32_e32 v19, v28, v24, vcc
	v_cndmask_b32_e32 v16, v16, v26, vcc
	;; [unrolled: 1-line block ×3, first 2 shown]
	v_cndmask_b32_e64 v21, v16, v19, s[6:7]
	v_cndmask_b32_e64 v16, v17, v16, s[6:7]
	v_cndmask_b32_e32 v17, v26, v22, vcc
	v_cndmask_b32_e64 v19, v19, v17, s[6:7]
	v_cndmask_b32_e64 v16, v16, v21, s[8:9]
	;; [unrolled: 1-line block ×3, first 2 shown]
	v_sub_u32_e32 v23, 32, v15
	v_alignbit_b32 v25, v16, v21, v23
	v_cmp_eq_u32_e64 s[10:11], 0, v15
	v_cndmask_b32_e64 v15, v25, v16, s[10:11]
	v_cndmask_b32_e32 v16, v24, v20, vcc
	v_cndmask_b32_e64 v17, v17, v16, s[6:7]
	v_cndmask_b32_e64 v19, v19, v17, s[8:9]
	v_alignbit_b32 v20, v21, v19, v23
	v_cndmask_b32_e32 v18, v22, v18, vcc
	v_cndmask_b32_e64 v20, v20, v21, s[10:11]
	v_bfe_u32 v25, v15, 29, 1
	v_cndmask_b32_e64 v16, v16, v18, s[6:7]
	v_alignbit_b32 v21, v15, v20, 30
	v_sub_u32_e32 v26, 0, v25
	v_cndmask_b32_e64 v16, v17, v16, s[8:9]
	v_xor_b32_e32 v27, v21, v26
	v_alignbit_b32 v17, v19, v16, v23
	v_cndmask_b32_e64 v17, v17, v19, s[10:11]
	v_ffbh_u32_e32 v19, v27
	v_add_u32_e32 v19, 1, v19
	v_cmp_ne_u32_e32 vcc, v21, v26
	v_alignbit_b32 v18, v20, v17, 30
	v_cndmask_b32_e32 v19, 33, v19, vcc
	v_alignbit_b32 v16, v17, v16, 30
	v_xor_b32_e32 v18, v18, v26
	v_sub_u32_e32 v20, 32, v19
	v_xor_b32_e32 v16, v16, v26
	v_alignbit_b32 v21, v27, v18, v20
	v_alignbit_b32 v16, v18, v16, v20
	v_alignbit_b32 v17, v21, v16, 9
	v_ffbh_u32_e32 v18, v17
	v_min_u32_e32 v18, 32, v18
	v_lshrrev_b32_e32 v24, 29, v15
	v_sub_u32_e32 v20, 31, v18
	v_alignbit_b32 v16, v17, v16, v20
	v_lshlrev_b32_e32 v17, 31, v24
	v_or_b32_e32 v20, 0x33800000, v17
	v_add_lshl_u32 v18, v18, v19, 23
	v_lshrrev_b32_e32 v16, 9, v16
	v_sub_u32_e32 v18, v20, v18
	v_or_b32_e32 v16, v18, v16
	v_alignbit_b32 v18, v19, v21, 9
	v_or_b32_e32 v17, v18, v17
	v_xor_b32_e32 v17, 1.0, v17
	s_mov_b32 s6, 0x3fc90fda
	v_mul_f32_e32 v18, 0x3fc90fda, v17
	v_fma_f32 v19, v17, s6, -v18
	v_fmac_f32_e32 v19, 0x33a22168, v17
	v_fmac_f32_e32 v19, 0x3fc90fda, v16
	v_lshrrev_b32_e32 v15, 30, v15
	v_add_f32_e32 v16, v18, v19
	v_add_u32_e32 v15, v25, v15
	s_andn2_saveexec_b64 s[6:7], s[16:17]
	s_cbranch_execnz .LBB12_82
	s_branch .LBB12_83
.LBB12_81:
	s_andn2_saveexec_b64 s[6:7], s[16:17]
.LBB12_82:
	s_mov_b32 s8, 0x3f22f983
	v_mul_f32_e64 v15, |v9|, s8
	v_rndne_f32_e32 v17, v15
	s_mov_b32 s8, 0xbfc90fda
	v_cvt_i32_f32_e32 v15, v17
	v_fma_f32 v16, v17, s8, |v9|
	v_fmac_f32_e32 v16, 0xb3a22168, v17
	v_fmac_f32_e32 v16, 0xa7c234c4, v17
.LBB12_83:
	s_or_b64 exec, exec, s[6:7]
	s_mov_b32 s8, 0x41c80000
	v_div_scale_f32 v17, s[6:7], v2, v2, s8
	v_rcp_f32_e32 v18, v17
	v_div_scale_f32 v19, vcc, s8, v2, s8
	v_mov_b32_e32 v25, 0xbf000004
	v_fma_f32 v20, -v17, v18, 1.0
	v_fmac_f32_e32 v18, v20, v18
	v_mul_f32_e32 v20, v19, v18
	v_fma_f32 v21, -v17, v20, v19
	v_fmac_f32_e32 v20, v21, v18
	v_fma_f32 v17, -v17, v20, v19
	v_div_fmas_f32 v17, v17, v18, v20
	v_div_fixup_f32 v2, v17, v2, s8
	v_mov_b32_e32 v17, 0x3a50e985
	v_fmac_f32_e32 v17, 0, v2
	v_mov_b32_e32 v18, 0x3da9a586
	v_fmac_f32_e32 v18, v2, v17
	;; [unrolled: 2-line block ×12, first 2 shown]
	v_fma_f32 v17, v2, v19, 1.0
	v_mov_b32_e32 v19, 0xbc3a3a12
	v_fmac_f32_e32 v19, 0, v2
	v_mov_b32_e32 v20, 0xbfa429da
	v_fmac_f32_e32 v20, v2, v19
	;; [unrolled: 2-line block ×9, first 2 shown]
	v_mov_b32_e32 v21, 0x44561b86
	v_fma_f32 v18, v2, v18, 1.0
	v_fmac_f32_e32 v21, v2, v19
	v_mov_b32_e32 v19, 0x4572a66e
	v_div_scale_f32 v22, s[6:7], v17, v17, v18
	v_fmac_f32_e32 v19, v2, v21
	v_mov_b32_e32 v21, 0x45e243be
	v_rcp_f32_e32 v23, v22
	v_fmac_f32_e32 v21, v2, v19
	v_mov_b32_e32 v19, 0x45b955d1
	v_fmac_f32_e32 v19, v2, v21
	v_mov_b32_e32 v21, 0x4500e17e
	;; [unrolled: 2-line block ×3, first 2 shown]
	v_fmac_f32_e32 v19, v2, v21
	v_fma_f32 v2, -v22, v23, 1.0
	v_fmac_f32_e32 v23, v2, v23
	v_div_scale_f32 v2, vcc, v18, v17, v18
	v_mul_f32_e32 v21, v2, v23
	v_fma_f32 v24, -v22, v21, v2
	v_fmac_f32_e32 v21, v24, v23
	v_fma_f32 v2, -v22, v21, v2
	v_div_fmas_f32 v2, v2, v23, v21
	v_div_fixup_f32 v2, v2, v17, v18
	v_mul_f32_e32 v17, v14, v14
	v_mov_b32_e32 v23, 0xbab64f3b
	v_mov_b32_e32 v21, 0x3c0881c4
	v_fmac_f32_e32 v23, 0x37d75334, v17
	v_mov_b32_e32 v24, 0x3d2aabf7
	v_fmac_f32_e32 v21, 0xb94c1982, v17
	v_mov_b32_e32 v22, 0xbe2aaa9d
	v_fma_f32 v23, v17, v23, v24
	v_fma_f32 v21, v17, v21, v22
	;; [unrolled: 1-line block ×3, first 2 shown]
	v_mul_f32_e32 v21, v17, v21
	v_fma_f32 v17, v17, v23, 1.0
	v_and_b32_e32 v23, 1, v13
	v_fmac_f32_e32 v14, v14, v21
	v_cmp_eq_u32_e32 vcc, 0, v23
	v_lshlrev_b32_e32 v13, 30, v13
	v_cndmask_b32_e64 v14, -v14, v17, vcc
	v_and_b32_e32 v13, 0x80000000, v13
	s_mov_b32 s10, 0xc0a00000
	v_xor_b32_e32 v13, v13, v14
	v_div_scale_f32 v14, s[6:7], v11, v11, s10
	v_rcp_f32_e32 v17, v14
	s_movk_i32 s8, 0x1f8
	v_cmp_class_f32_e64 s[6:7], v9, s8
	v_mov_b32_e32 v18, 0x3c0881c4
	v_fma_f32 v26, -v14, v17, 1.0
	v_fmac_f32_e32 v17, v26, v17
	v_div_scale_f32 v26, vcc, s10, v11, s10
	v_mul_f32_e32 v27, v26, v17
	v_fma_f32 v28, -v14, v27, v26
	v_fmac_f32_e32 v27, v28, v17
	v_fma_f32 v14, -v14, v27, v26
	v_div_scale_f32 v26, s[8:9], v19, v19, v20
	v_rcp_f32_e32 v28, v26
	v_div_fmas_f32 v14, v14, v17, v27
	v_div_fixup_f32 v14, v14, v11, s10
	v_mov_b32_e32 v21, 0xbab64f3b
	v_fma_f32 v17, -v26, v28, 1.0
	v_fmac_f32_e32 v28, v17, v28
	v_div_scale_f32 v17, vcc, v20, v19, v20
	v_mul_f32_e32 v27, v17, v28
	v_fma_f32 v29, -v26, v27, v17
	v_fmac_f32_e32 v27, v29, v28
	v_fma_f32 v17, -v26, v27, v17
	v_div_fmas_f32 v17, v17, v28, v27
	v_div_fixup_f32 v17, v17, v19, v20
	v_mul_f32_e32 v14, v14, v17
	v_mul_f32_e32 v17, v16, v16
	v_fmac_f32_e32 v18, 0xb94c1982, v17
	v_fmac_f32_e32 v22, v17, v18
	;; [unrolled: 1-line block ×3, first 2 shown]
	v_mul_f32_e32 v18, v17, v22
	v_fmac_f32_e32 v24, v17, v21
	v_fmac_f32_e32 v16, v16, v18
	;; [unrolled: 1-line block ×3, first 2 shown]
	v_and_b32_e32 v18, 1, v15
	v_lshlrev_b32_e32 v15, 30, v15
	v_fma_f32 v17, v17, v25, 1.0
	v_cmp_eq_u32_e32 vcc, 0, v18
	v_and_b32_e32 v15, 0x80000000, v15
	v_xor_b32_e32 v9, v12, v9
	v_cndmask_b32_e32 v16, v17, v16, vcc
	v_xor_b32_e32 v9, v9, v15
	v_mov_b32_e32 v23, 0x7fc00000
	v_xor_b32_e32 v9, v9, v16
	v_cndmask_b32_e64 v13, v23, v13, s[6:7]
	v_cndmask_b32_e64 v9, v23, v9, s[6:7]
	s_mov_b32 s6, 0xf800000
	v_mul_f32_e32 v12, 0x4f800000, v11
	v_cmp_gt_f32_e32 vcc, s6, v11
	v_cndmask_b32_e32 v11, v11, v12, vcc
	v_sqrt_f32_e32 v12, v11
	v_mul_f32_e32 v9, v14, v9
	v_fmac_f32_e32 v9, v2, v13
	v_mul_f32_e32 v2, 0x3f4c422a, v9
	v_add_u32_e32 v9, -1, v12
	v_fma_f32 v13, -v9, v12, v11
	v_cmp_ge_f32_e64 s[6:7], 0, v13
	v_add_u32_e32 v13, 1, v12
	v_cndmask_b32_e64 v9, v12, v9, s[6:7]
	v_fma_f32 v12, -v13, v12, v11
	v_cmp_lt_f32_e64 s[6:7], 0, v12
	v_cndmask_b32_e64 v9, v9, v13, s[6:7]
	v_mul_f32_e32 v12, 0x37800000, v9
	v_cndmask_b32_e32 v9, v9, v12, vcc
	v_mov_b32_e32 v12, 0x260
	v_cmp_class_f32_e32 vcc, v11, v12
	v_cndmask_b32_e32 v9, v9, v11, vcc
	v_div_scale_f32 v11, s[6:7], v9, v9, v2
	v_rcp_f32_e32 v12, v11
	v_fma_f32 v13, -v11, v12, 1.0
	v_fmac_f32_e32 v12, v13, v12
	v_div_scale_f32 v13, vcc, v2, v9, v2
	v_mul_f32_e32 v14, v13, v12
	v_fma_f32 v15, -v11, v14, v13
	v_fmac_f32_e32 v14, v15, v12
	v_fma_f32 v11, -v11, v14, v13
	v_div_fmas_f32 v11, v11, v12, v14
	v_div_fixup_f32 v9, v11, v9, v2
.LBB12_84:
	s_or_b64 exec, exec, s[14:15]
	s_or_b64 exec, exec, s[12:13]
	s_and_saveexec_b64 s[6:7], s[4:5]
	s_xor_b64 s[4:5], exec, s[6:7]
	s_cbranch_execnz .LBB12_73
.LBB12_85:
	s_or_b64 exec, exec, s[4:5]
	v_cmp_lt_i32_e32 vcc, v5, v4
	s_and_saveexec_b64 s[4:5], vcc
	s_cbranch_execz .LBB12_74
.LBB12_86:
	v_add_u32_e32 v2, s20, v5
	v_mov_b32_e32 v3, 0
	v_lshlrev_b64 v[2:3], 2, v[2:3]
	v_add_co_u32_e32 v2, vcc, v0, v2
	v_addc_co_u32_e32 v3, vcc, v1, v3, vcc
	v_add_u32_e32 v5, 0x100, v5
	flat_store_dword v[2:3], v7
	s_or_b64 exec, exec, s[4:5]
	v_cmp_lt_i32_e32 vcc, v5, v4
	s_and_saveexec_b64 s[4:5], vcc
	s_cbranch_execnz .LBB12_75
.LBB12_87:
	s_or_b64 exec, exec, s[4:5]
	v_cmp_lt_i32_e32 vcc, v5, v4
	s_and_saveexec_b64 s[4:5], vcc
	s_cbranch_execz .LBB12_76
.LBB12_88:
	v_add_u32_e32 v2, s20, v5
	v_mov_b32_e32 v3, 0
	v_lshlrev_b64 v[2:3], 2, v[2:3]
	v_add_co_u32_e32 v0, vcc, v0, v2
	v_addc_co_u32_e32 v1, vcc, v1, v3, vcc
	flat_store_dword v[0:1], v9
	s_or_b64 exec, exec, s[4:5]
	s_waitcnt vmcnt(0) lgkmcnt(0)
	s_setpc_b64 s[30:31]
.Lfunc_end12:
	.size	_ZN2at6native25elementwise_kernel_helperILb0EZZZNS0_12_GLOBAL__N_121bessel_j0_kernel_cudaERNS_18TensorIteratorBaseEENKUlvE_clEvENKUlvE0_clEvEUlfE_NS0_6memory8policies11unroll_baseILi256ESt5arrayIPcLm2EE23TrivialOffsetCalculatorILi1EjESF_NS8_15LoadWithoutCastENS8_16StoreWithoutCastELi4ELi1EEEEEvT0_T1_, .Lfunc_end12-_ZN2at6native25elementwise_kernel_helperILb0EZZZNS0_12_GLOBAL__N_121bessel_j0_kernel_cudaERNS_18TensorIteratorBaseEENKUlvE_clEvENKUlvE0_clEvEUlfE_NS0_6memory8policies11unroll_baseILi256ESt5arrayIPcLm2EE23TrivialOffsetCalculatorILi1EjESF_NS8_15LoadWithoutCastENS8_16StoreWithoutCastELi4ELi1EEEEEvT0_T1_
                                        ; -- End function
	.section	.AMDGPU.csdata,"",@progbits
; Function info:
; codeLenInByte = 12156
; NumSgprs: 36
; NumVgprs: 33
; NumAgprs: 0
; TotalNumVgprs: 33
; ScratchSize: 0
; MemoryBound: 0
	.text
	.p2align	2                               ; -- Begin function _ZN2at6native25elementwise_kernel_helperILb0EZZZNS0_12_GLOBAL__N_121bessel_j0_kernel_cudaERNS_18TensorIteratorBaseEENKUlvE_clEvENKUlvE0_clEvEUlfE_NS0_6memory8policies10vectorizedILi4ESt5arrayIPcLm2EELi4EEEEEvT0_T1_
	.type	_ZN2at6native25elementwise_kernel_helperILb0EZZZNS0_12_GLOBAL__N_121bessel_j0_kernel_cudaERNS_18TensorIteratorBaseEENKUlvE_clEvENKUlvE0_clEvEUlfE_NS0_6memory8policies10vectorizedILi4ESt5arrayIPcLm2EELi4EEEEEvT0_T1_,@function
_ZN2at6native25elementwise_kernel_helperILb0EZZZNS0_12_GLOBAL__N_121bessel_j0_kernel_cudaERNS_18TensorIteratorBaseEENKUlvE_clEvENKUlvE0_clEvEUlfE_NS0_6memory8policies10vectorizedILi4ESt5arrayIPcLm2EELi4EEEEEvT0_T1_: ; @_ZN2at6native25elementwise_kernel_helperILb0EZZZNS0_12_GLOBAL__N_121bessel_j0_kernel_cudaERNS_18TensorIteratorBaseEENKUlvE_clEvENKUlvE0_clEvEUlfE_NS0_6memory8policies10vectorizedILi4ESt5arrayIPcLm2EELi4EEEEEvT0_T1_
; %bb.0:
	s_waitcnt vmcnt(0) expcnt(0) lgkmcnt(0)
	s_lshl_b32 s4, s12, 10
	s_ashr_i32 s5, s4, 31
	s_lshl_b64 s[10:11], s[4:5], 2
	v_mov_b32_e32 v4, s11
	v_add_co_u32_e32 v2, vcc, s10, v2
	v_addc_co_u32_e32 v3, vcc, v3, v4, vcc
	v_and_b32_e32 v4, 0x3ff, v31
	v_lshlrev_b32_e32 v7, 4, v4
	v_add_co_u32_e32 v2, vcc, v2, v7
	v_addc_co_u32_e32 v3, vcc, 0, v3, vcc
	flat_load_dwordx4 v[2:5], v[2:3]
	s_mov_b32 s4, 0x40a00000
	s_waitcnt vmcnt(0) lgkmcnt(0)
	v_cmp_gt_f32_e32 vcc, 0, v2
	v_cndmask_b32_e64 v8, v2, -v2, vcc
	v_cmp_ge_f32_e32 vcc, s4, v8
	v_mul_f32_e32 v6, v8, v8
                                        ; implicit-def: $vgpr2
	s_and_saveexec_b64 s[4:5], vcc
	s_xor_b64 s[4:5], exec, s[4:5]
	s_cbranch_execz .LBB13_6
; %bb.1:
	s_mov_b32 s6, 0x3727c5ac
	v_cmp_ngt_f32_e32 vcc, s6, v8
                                        ; implicit-def: $vgpr2
	s_and_saveexec_b64 s[6:7], vcc
	s_xor_b64 s[6:7], exec, s[6:7]
	s_cbranch_execz .LBB13_3
; %bb.2:
	v_mov_b32_e32 v2, 0x43f9c815
	v_fmac_f32_e32 v2, 0, v6
	v_mov_b32_e32 v9, 0x4829b65a
	v_fmac_f32_e32 v9, v6, v2
	;; [unrolled: 2-line block ×4, first 2 shown]
	s_mov_b32 s8, 0xcf8ee29d
	v_mul_f32_e32 v8, 0, v6
	v_mul_f32_e32 v9, v6, v9
	s_mov_b32 s9, 0x53f5f59c
	v_pk_add_f32 v[8:9], v[8:9], s[8:9]
	s_mov_b32 s8, 0x53e3ba8e
	s_mov_b32 s9, 0x578d3514
	v_pk_fma_f32 v[8:9], v[6:7], v[8:9], s[8:9] op_sel_hi:[0,1,1]
	s_mov_b32 s8, 0xd762b0a7
	s_mov_b32 s9, 0x5ae20a0c
	v_pk_fma_f32 v[8:9], v[6:7], v[8:9], s[8:9] op_sel_hi:[0,1,1]
	;; [unrolled: 3-line block ×3, first 2 shown]
	s_mov_b32 s8, 0xc0b90fdc
	s_mov_b32 s9, 0xc1f3c525
	v_pk_add_f32 v[10:11], v[6:7], s[8:9] op_sel_hi:[0,1]
	v_mul_f32_e32 v2, v10, v11
	v_mul_f32_e32 v2, v2, v8
	v_div_scale_f32 v6, s[8:9], v9, v9, v2
	v_rcp_f32_e32 v8, v6
	v_fma_f32 v10, -v6, v8, 1.0
	v_fmac_f32_e32 v8, v10, v8
	v_div_scale_f32 v10, vcc, v2, v9, v2
	v_mul_f32_e32 v11, v10, v8
	v_fma_f32 v12, -v6, v11, v10
	v_fmac_f32_e32 v11, v12, v8
	v_fma_f32 v6, -v6, v11, v10
	v_div_fmas_f32 v6, v6, v8, v11
	v_div_fixup_f32 v2, v6, v9, v2
                                        ; implicit-def: $vgpr6
.LBB13_3:
	s_andn2_saveexec_b64 s[6:7], s[6:7]
; %bb.4:
	s_mov_b32 s8, 0xbe800000
	v_fma_f32 v2, v6, s8, 1.0
; %bb.5:
	s_or_b64 exec, exec, s[6:7]
                                        ; implicit-def: $vgpr6
                                        ; implicit-def: $vgpr8
.LBB13_6:
	s_andn2_saveexec_b64 s[12:13], s[4:5]
	s_cbranch_execz .LBB13_16
; %bb.7:
	v_add_f32_e32 v2, 0xbf490fdb, v8
	v_and_b32_e32 v9, 0x7fffffff, v2
	s_brev_b32 s4, 18
	v_cmp_nlt_f32_e64 s[14:15], |v2|, s4
	v_lshrrev_b32_e32 v14, 23, v9
                                        ; implicit-def: $vgpr10
                                        ; implicit-def: $vgpr11
	s_and_saveexec_b64 s[4:5], s[14:15]
	s_xor_b64 s[16:17], exec, s[4:5]
	s_cbranch_execz .LBB13_9
; %bb.8:
	v_add_u32_e32 v10, 0xffffff88, v14
	v_not_b32_e32 v12, 63
	v_cmp_lt_u32_e32 vcc, 63, v10
	v_cndmask_b32_e32 v12, 0, v12, vcc
	v_add_u32_e32 v10, v12, v10
	v_not_b32_e32 v12, 31
	v_cmp_lt_u32_e64 s[4:5], 31, v10
	v_cndmask_b32_e64 v13, 0, v12, s[4:5]
	v_add_u32_e32 v10, v13, v10
	v_cmp_lt_u32_e64 s[6:7], 31, v10
	v_cndmask_b32_e64 v12, 0, v12, s[6:7]
	v_add_u32_e32 v15, v12, v10
	v_and_b32_e32 v10, 0x7fffff, v9
	v_or_b32_e32 v26, 0x800000, v10
	s_mov_b32 s8, 0xfe5163ab
	v_mad_u64_u32 v[12:13], s[8:9], v26, s8, 0
	v_mov_b32_e32 v11, 0
	v_mov_b32_e32 v10, v13
	s_mov_b32 s8, 0x3c439041
	v_mad_u64_u32 v[16:17], s[8:9], v26, s8, v[10:11]
	v_mov_b32_e32 v10, v17
	s_mov_b32 s8, 0xdb629599
	v_mad_u64_u32 v[18:19], s[8:9], v26, s8, v[10:11]
	;; [unrolled: 3-line block ×6, first 2 shown]
	v_cndmask_b32_e32 v13, v24, v20, vcc
	v_cndmask_b32_e32 v10, v10, v22, vcc
	;; [unrolled: 1-line block ×3, first 2 shown]
	v_cndmask_b32_e64 v17, v10, v13, s[4:5]
	v_cndmask_b32_e64 v10, v11, v10, s[4:5]
	v_cndmask_b32_e32 v11, v22, v18, vcc
	v_cndmask_b32_e64 v13, v13, v11, s[4:5]
	v_sub_u32_e32 v19, 32, v15
	v_cmp_eq_u32_e64 s[8:9], 0, v15
	v_cndmask_b32_e32 v15, v20, v16, vcc
	v_cndmask_b32_e64 v10, v10, v17, s[6:7]
	v_cndmask_b32_e64 v17, v17, v13, s[6:7]
	;; [unrolled: 1-line block ×3, first 2 shown]
	v_alignbit_b32 v21, v10, v17, v19
	v_cndmask_b32_e64 v13, v13, v11, s[6:7]
	v_cndmask_b32_e64 v10, v21, v10, s[8:9]
	v_alignbit_b32 v16, v17, v13, v19
	v_cndmask_b32_e64 v16, v16, v17, s[8:9]
	v_bfe_u32 v21, v10, 29, 1
	v_cndmask_b32_e32 v12, v18, v12, vcc
	v_alignbit_b32 v17, v10, v16, 30
	v_sub_u32_e32 v22, 0, v21
	v_cndmask_b32_e64 v12, v15, v12, s[4:5]
	v_xor_b32_e32 v23, v17, v22
	v_cndmask_b32_e64 v11, v11, v12, s[6:7]
	v_alignbit_b32 v12, v13, v11, v19
	v_ffbh_u32_e32 v15, v23
	v_cndmask_b32_e64 v12, v12, v13, s[8:9]
	v_add_u32_e32 v15, 1, v15
	v_cmp_ne_u32_e32 vcc, v17, v22
	v_alignbit_b32 v13, v16, v12, 30
	v_cndmask_b32_e32 v15, 33, v15, vcc
	v_alignbit_b32 v11, v12, v11, 30
	v_xor_b32_e32 v13, v13, v22
	v_sub_u32_e32 v16, 32, v15
	v_xor_b32_e32 v11, v11, v22
	v_alignbit_b32 v17, v23, v13, v16
	v_alignbit_b32 v11, v13, v11, v16
	;; [unrolled: 1-line block ×3, first 2 shown]
	v_ffbh_u32_e32 v13, v12
	v_min_u32_e32 v13, 32, v13
	v_lshrrev_b32_e32 v20, 29, v10
	v_sub_u32_e32 v16, 31, v13
	v_alignbit_b32 v11, v12, v11, v16
	v_lshlrev_b32_e32 v12, 31, v20
	v_or_b32_e32 v16, 0x33800000, v12
	v_add_lshl_u32 v13, v13, v15, 23
	v_lshrrev_b32_e32 v11, 9, v11
	v_sub_u32_e32 v13, v16, v13
	v_or_b32_e32 v11, v13, v11
	v_alignbit_b32 v13, v15, v17, 9
	v_or_b32_e32 v12, v13, v12
	v_xor_b32_e32 v12, 1.0, v12
	s_mov_b32 s4, 0x3fc90fda
	v_mul_f32_e32 v13, 0x3fc90fda, v12
	v_fma_f32 v15, v12, s4, -v13
	v_fmac_f32_e32 v15, 0x33a22168, v12
	v_fmac_f32_e32 v15, 0x3fc90fda, v11
	v_lshrrev_b32_e32 v10, 30, v10
	v_add_f32_e32 v11, v13, v15
	v_add_u32_e32 v10, v21, v10
	s_andn2_saveexec_b64 s[4:5], s[16:17]
	s_branch .LBB13_10
.LBB13_9:
	s_andn2_saveexec_b64 s[4:5], s[16:17]
.LBB13_10:
	s_mov_b32 s6, 0x3f22f983
	v_mul_f32_e64 v10, |v2|, s6
	v_rndne_f32_e32 v12, v10
	s_mov_b32 s6, 0xbfc90fda
	v_cvt_i32_f32_e32 v10, v12
	v_fma_f32 v11, v12, s6, |v2|
	v_fmac_f32_e32 v11, 0xb3a22168, v12
	v_fmac_f32_e32 v11, 0xa7c234c4, v12
; %bb.11:
	s_or_b64 exec, exec, s[4:5]
                                        ; implicit-def: $vgpr12
                                        ; implicit-def: $vgpr13
	s_and_saveexec_b64 s[4:5], s[14:15]
	s_xor_b64 s[14:15], exec, s[4:5]
	s_cbranch_execz .LBB13_13
; %bb.12:
	v_add_u32_e32 v12, 0xffffff88, v14
	v_not_b32_e32 v14, 63
	v_cmp_lt_u32_e32 vcc, 63, v12
	v_cndmask_b32_e32 v14, 0, v14, vcc
	v_add_u32_e32 v12, v14, v12
	v_not_b32_e32 v14, 31
	v_cmp_lt_u32_e64 s[4:5], 31, v12
	v_cndmask_b32_e64 v15, 0, v14, s[4:5]
	v_add_u32_e32 v12, v15, v12
	v_cmp_lt_u32_e64 s[6:7], 31, v12
	v_cndmask_b32_e64 v14, 0, v14, s[6:7]
	v_add_u32_e32 v26, v14, v12
	v_and_b32_e32 v12, 0x7fffff, v9
	v_or_b32_e32 v27, 0x800000, v12
	s_mov_b32 s8, 0xfe5163ab
	v_mad_u64_u32 v[14:15], s[8:9], v27, s8, 0
	v_mov_b32_e32 v13, 0
	v_mov_b32_e32 v12, v15
	s_mov_b32 s8, 0x3c439041
	v_mad_u64_u32 v[16:17], s[8:9], v27, s8, v[12:13]
	v_mov_b32_e32 v12, v17
	s_mov_b32 s8, 0xdb629599
	v_mad_u64_u32 v[18:19], s[8:9], v27, s8, v[12:13]
	;; [unrolled: 3-line block ×6, first 2 shown]
	v_cndmask_b32_e32 v15, v24, v20, vcc
	v_cndmask_b32_e32 v12, v12, v22, vcc
	;; [unrolled: 1-line block ×3, first 2 shown]
	v_cndmask_b32_e64 v17, v12, v15, s[4:5]
	v_cndmask_b32_e64 v12, v13, v12, s[4:5]
	v_cndmask_b32_e32 v13, v22, v18, vcc
	v_cndmask_b32_e64 v15, v15, v13, s[4:5]
	v_cndmask_b32_e32 v16, v20, v16, vcc
	v_cndmask_b32_e64 v12, v12, v17, s[6:7]
	v_cndmask_b32_e64 v17, v17, v15, s[6:7]
	v_sub_u32_e32 v19, 32, v26
	v_cndmask_b32_e64 v13, v13, v16, s[4:5]
	v_alignbit_b32 v21, v12, v17, v19
	v_cmp_eq_u32_e64 s[8:9], 0, v26
	v_cndmask_b32_e64 v15, v15, v13, s[6:7]
	v_cndmask_b32_e64 v12, v21, v12, s[8:9]
	v_alignbit_b32 v20, v17, v15, v19
	v_cndmask_b32_e64 v17, v20, v17, s[8:9]
	v_bfe_u32 v22, v12, 29, 1
	v_cndmask_b32_e32 v14, v18, v14, vcc
	v_alignbit_b32 v20, v12, v17, 30
	v_sub_u32_e32 v23, 0, v22
	v_cndmask_b32_e64 v14, v16, v14, s[4:5]
	v_xor_b32_e32 v24, v20, v23
	v_cndmask_b32_e64 v13, v13, v14, s[6:7]
	v_alignbit_b32 v14, v15, v13, v19
	v_ffbh_u32_e32 v16, v24
	v_cndmask_b32_e64 v14, v14, v15, s[8:9]
	v_add_u32_e32 v16, 1, v16
	v_cmp_ne_u32_e32 vcc, v20, v23
	v_alignbit_b32 v15, v17, v14, 30
	v_cndmask_b32_e32 v16, 33, v16, vcc
	v_alignbit_b32 v13, v14, v13, 30
	v_xor_b32_e32 v15, v15, v23
	v_sub_u32_e32 v17, 32, v16
	v_xor_b32_e32 v13, v13, v23
	v_alignbit_b32 v18, v24, v15, v17
	v_alignbit_b32 v13, v15, v13, v17
	;; [unrolled: 1-line block ×3, first 2 shown]
	v_ffbh_u32_e32 v15, v14
	v_min_u32_e32 v15, 32, v15
	v_lshrrev_b32_e32 v21, 29, v12
	v_sub_u32_e32 v17, 31, v15
	v_alignbit_b32 v13, v14, v13, v17
	v_lshlrev_b32_e32 v14, 31, v21
	v_or_b32_e32 v17, 0x33800000, v14
	v_add_lshl_u32 v15, v15, v16, 23
	v_lshrrev_b32_e32 v13, 9, v13
	v_sub_u32_e32 v15, v17, v15
	v_or_b32_e32 v13, v15, v13
	v_alignbit_b32 v15, v16, v18, 9
	v_or_b32_e32 v14, v15, v14
	v_xor_b32_e32 v14, 1.0, v14
	s_mov_b32 s4, 0x3fc90fda
	v_mul_f32_e32 v15, 0x3fc90fda, v14
	v_fma_f32 v16, v14, s4, -v15
	v_fmac_f32_e32 v16, 0x33a22168, v14
	v_fmac_f32_e32 v16, 0x3fc90fda, v13
	v_lshrrev_b32_e32 v12, 30, v12
	v_add_f32_e32 v13, v15, v16
	v_add_u32_e32 v12, v22, v12
	s_andn2_saveexec_b64 s[4:5], s[14:15]
	s_cbranch_execnz .LBB13_14
	s_branch .LBB13_15
.LBB13_13:
	s_andn2_saveexec_b64 s[4:5], s[14:15]
.LBB13_14:
	s_mov_b32 s6, 0x3f22f983
	v_mul_f32_e64 v12, |v2|, s6
	v_rndne_f32_e32 v14, v12
	s_mov_b32 s6, 0xbfc90fda
	v_cvt_i32_f32_e32 v12, v14
	v_fma_f32 v13, v14, s6, |v2|
	v_fmac_f32_e32 v13, 0xb3a22168, v14
	v_fmac_f32_e32 v13, 0xa7c234c4, v14
.LBB13_15:
	s_or_b64 exec, exec, s[4:5]
	s_mov_b32 s6, 0x41c80000
	v_div_scale_f32 v14, s[4:5], v6, v6, s6
	v_rcp_f32_e32 v15, v14
	v_div_scale_f32 v16, vcc, s6, v6, s6
	v_mov_b32_e32 v22, 0xbf000004
	v_fma_f32 v17, -v14, v15, 1.0
	v_fmac_f32_e32 v15, v17, v15
	v_mul_f32_e32 v17, v16, v15
	v_fma_f32 v18, -v14, v17, v16
	v_fmac_f32_e32 v17, v18, v15
	v_fma_f32 v14, -v14, v17, v16
	v_div_fmas_f32 v14, v14, v15, v17
	v_div_fixup_f32 v6, v14, v6, s6
	v_mov_b32_e32 v14, 0x3a50e985
	v_fmac_f32_e32 v14, 0, v6
	v_mov_b32_e32 v15, 0x3da9a586
	v_fmac_f32_e32 v15, v6, v14
	;; [unrolled: 2-line block ×12, first 2 shown]
	v_fma_f32 v14, v6, v16, 1.0
	v_mov_b32_e32 v16, 0xbc3a3a12
	v_fmac_f32_e32 v16, 0, v6
	v_mov_b32_e32 v17, 0xbfa429da
	v_fmac_f32_e32 v17, v6, v16
	;; [unrolled: 2-line block ×9, first 2 shown]
	v_mov_b32_e32 v18, 0x44561b86
	v_fma_f32 v15, v6, v15, 1.0
	v_fmac_f32_e32 v18, v6, v16
	v_mov_b32_e32 v16, 0x4572a66e
	v_div_scale_f32 v19, s[4:5], v14, v14, v15
	v_fmac_f32_e32 v16, v6, v18
	v_mov_b32_e32 v18, 0x45e243be
	v_rcp_f32_e32 v20, v19
	v_fmac_f32_e32 v18, v6, v16
	v_mov_b32_e32 v16, 0x45b955d1
	v_fmac_f32_e32 v16, v6, v18
	v_mov_b32_e32 v18, 0x4500e17e
	;; [unrolled: 2-line block ×3, first 2 shown]
	v_fmac_f32_e32 v16, v6, v18
	v_fma_f32 v6, -v19, v20, 1.0
	v_fmac_f32_e32 v20, v6, v20
	v_div_scale_f32 v6, vcc, v15, v14, v15
	v_mul_f32_e32 v18, v6, v20
	v_fma_f32 v21, -v19, v18, v6
	v_fmac_f32_e32 v18, v21, v20
	v_fma_f32 v6, -v19, v18, v6
	v_div_fmas_f32 v6, v6, v20, v18
	v_div_fixup_f32 v6, v6, v14, v15
	v_mul_f32_e32 v14, v11, v11
	v_mov_b32_e32 v20, 0xbab64f3b
	v_mov_b32_e32 v18, 0x3c0881c4
	v_fmac_f32_e32 v20, 0x37d75334, v14
	v_mov_b32_e32 v21, 0x3d2aabf7
	v_fmac_f32_e32 v18, 0xb94c1982, v14
	v_mov_b32_e32 v19, 0xbe2aaa9d
	v_fma_f32 v20, v14, v20, v21
	v_fma_f32 v18, v14, v18, v19
	;; [unrolled: 1-line block ×3, first 2 shown]
	v_mul_f32_e32 v18, v14, v18
	v_fma_f32 v14, v14, v20, 1.0
	v_and_b32_e32 v20, 1, v10
	v_fmac_f32_e32 v11, v11, v18
	v_cmp_eq_u32_e32 vcc, 0, v20
	v_lshlrev_b32_e32 v10, 30, v10
	v_cndmask_b32_e64 v11, -v11, v14, vcc
	v_and_b32_e32 v10, 0x80000000, v10
	s_mov_b32 s8, 0xc0a00000
	v_xor_b32_e32 v10, v10, v11
	v_div_scale_f32 v11, s[4:5], v8, v8, s8
	v_rcp_f32_e32 v14, v11
	s_movk_i32 s6, 0x1f8
	v_cmp_class_f32_e64 s[4:5], v2, s6
	v_mov_b32_e32 v15, 0x3c0881c4
	v_fma_f32 v23, -v11, v14, 1.0
	v_fmac_f32_e32 v14, v23, v14
	v_div_scale_f32 v23, vcc, s8, v8, s8
	v_mul_f32_e32 v24, v23, v14
	v_fma_f32 v25, -v11, v24, v23
	v_fmac_f32_e32 v24, v25, v14
	v_fma_f32 v11, -v11, v24, v23
	v_div_scale_f32 v23, s[6:7], v16, v16, v17
	v_rcp_f32_e32 v25, v23
	v_div_fmas_f32 v11, v11, v14, v24
	v_div_fixup_f32 v11, v11, v8, s8
	v_mov_b32_e32 v18, 0xbab64f3b
	v_fma_f32 v14, -v23, v25, 1.0
	v_fmac_f32_e32 v25, v14, v25
	v_div_scale_f32 v14, vcc, v17, v16, v17
	v_mul_f32_e32 v24, v14, v25
	v_fma_f32 v26, -v23, v24, v14
	v_fmac_f32_e32 v24, v26, v25
	v_fma_f32 v14, -v23, v24, v14
	v_div_fmas_f32 v14, v14, v25, v24
	v_div_fixup_f32 v14, v14, v16, v17
	v_mul_f32_e32 v11, v11, v14
	v_mul_f32_e32 v14, v13, v13
	v_fmac_f32_e32 v15, 0xb94c1982, v14
	v_fmac_f32_e32 v19, v14, v15
	;; [unrolled: 1-line block ×3, first 2 shown]
	v_mul_f32_e32 v15, v14, v19
	v_fmac_f32_e32 v21, v14, v18
	v_fmac_f32_e32 v13, v13, v15
	;; [unrolled: 1-line block ×3, first 2 shown]
	v_and_b32_e32 v15, 1, v12
	v_lshlrev_b32_e32 v12, 30, v12
	v_fma_f32 v14, v14, v22, 1.0
	v_cmp_eq_u32_e32 vcc, 0, v15
	v_and_b32_e32 v12, 0x80000000, v12
	v_xor_b32_e32 v2, v9, v2
	v_cndmask_b32_e32 v13, v14, v13, vcc
	v_xor_b32_e32 v2, v2, v12
	v_mov_b32_e32 v20, 0x7fc00000
	v_xor_b32_e32 v2, v2, v13
	v_cndmask_b32_e64 v10, v20, v10, s[4:5]
	v_cndmask_b32_e64 v2, v20, v2, s[4:5]
	s_mov_b32 s4, 0xf800000
	v_mul_f32_e32 v9, 0x4f800000, v8
	v_cmp_gt_f32_e32 vcc, s4, v8
	v_cndmask_b32_e32 v8, v8, v9, vcc
	v_sqrt_f32_e32 v9, v8
	v_mul_f32_e32 v2, v11, v2
	v_fmac_f32_e32 v2, v6, v10
	v_mul_f32_e32 v2, 0x3f4c422a, v2
	v_add_u32_e32 v6, -1, v9
	v_fma_f32 v10, -v6, v9, v8
	v_cmp_ge_f32_e64 s[4:5], 0, v10
	v_add_u32_e32 v10, 1, v9
	v_cndmask_b32_e64 v6, v9, v6, s[4:5]
	v_fma_f32 v9, -v10, v9, v8
	v_cmp_lt_f32_e64 s[4:5], 0, v9
	v_cndmask_b32_e64 v6, v6, v10, s[4:5]
	v_mul_f32_e32 v9, 0x37800000, v6
	v_cndmask_b32_e32 v6, v6, v9, vcc
	v_mov_b32_e32 v9, 0x260
	v_cmp_class_f32_e32 vcc, v8, v9
	v_cndmask_b32_e32 v6, v6, v8, vcc
	v_div_scale_f32 v8, s[4:5], v6, v6, v2
	v_rcp_f32_e32 v9, v8
	v_fma_f32 v10, -v8, v9, 1.0
	v_fmac_f32_e32 v9, v10, v9
	v_div_scale_f32 v10, vcc, v2, v6, v2
	v_mul_f32_e32 v11, v10, v9
	v_fma_f32 v12, -v8, v11, v10
	v_fmac_f32_e32 v11, v12, v9
	v_fma_f32 v8, -v8, v11, v10
	v_div_fmas_f32 v8, v8, v9, v11
	v_div_fixup_f32 v2, v8, v6, v2
.LBB13_16:
	s_or_b64 exec, exec, s[12:13]
	v_cmp_gt_f32_e32 vcc, 0, v3
	v_cndmask_b32_e64 v8, v3, -v3, vcc
	s_mov_b32 s4, 0x40a00000
	v_cmp_ge_f32_e32 vcc, s4, v8
	v_mul_f32_e32 v6, v8, v8
	s_and_saveexec_b64 s[4:5], vcc
	s_xor_b64 s[4:5], exec, s[4:5]
	s_cbranch_execz .LBB13_22
; %bb.17:
	s_mov_b32 s6, 0x3727c5ac
	v_cmp_ngt_f32_e32 vcc, s6, v8
	s_and_saveexec_b64 s[6:7], vcc
	s_xor_b64 s[6:7], exec, s[6:7]
	s_cbranch_execz .LBB13_19
; %bb.18:
	v_mov_b32_e32 v3, 0x43f9c815
	v_fmac_f32_e32 v3, 0, v6
	v_mov_b32_e32 v9, 0x4829b65a
	v_fmac_f32_e32 v9, v6, v3
	;; [unrolled: 2-line block ×4, first 2 shown]
	s_mov_b32 s8, 0xcf8ee29d
	v_mul_f32_e32 v8, 0, v6
	v_mul_f32_e32 v9, v6, v9
	s_mov_b32 s9, 0x53f5f59c
	v_pk_add_f32 v[8:9], v[8:9], s[8:9]
	s_mov_b32 s8, 0x53e3ba8e
	s_mov_b32 s9, 0x578d3514
	v_pk_fma_f32 v[8:9], v[6:7], v[8:9], s[8:9] op_sel_hi:[0,1,1]
	s_mov_b32 s8, 0xd762b0a7
	s_mov_b32 s9, 0x5ae20a0c
	v_pk_fma_f32 v[8:9], v[6:7], v[8:9], s[8:9] op_sel_hi:[0,1,1]
	;; [unrolled: 3-line block ×3, first 2 shown]
	s_mov_b32 s8, 0xc0b90fdc
	s_mov_b32 s9, 0xc1f3c525
	v_pk_add_f32 v[10:11], v[6:7], s[8:9] op_sel_hi:[0,1]
	v_mul_f32_e32 v3, v10, v11
	v_mul_f32_e32 v3, v3, v8
	v_div_scale_f32 v6, s[8:9], v9, v9, v3
	v_rcp_f32_e32 v8, v6
	v_fma_f32 v10, -v6, v8, 1.0
	v_fmac_f32_e32 v8, v10, v8
	v_div_scale_f32 v10, vcc, v3, v9, v3
	v_mul_f32_e32 v11, v10, v8
	v_fma_f32 v12, -v6, v11, v10
	v_fmac_f32_e32 v11, v12, v8
	v_fma_f32 v6, -v6, v11, v10
	v_div_fmas_f32 v6, v6, v8, v11
	v_div_fixup_f32 v3, v6, v9, v3
                                        ; implicit-def: $vgpr6
.LBB13_19:
	s_andn2_saveexec_b64 s[6:7], s[6:7]
; %bb.20:
	s_mov_b32 s8, 0xbe800000
	v_fma_f32 v3, v6, s8, 1.0
; %bb.21:
	s_or_b64 exec, exec, s[6:7]
                                        ; implicit-def: $vgpr6
                                        ; implicit-def: $vgpr8
.LBB13_22:
	s_andn2_saveexec_b64 s[12:13], s[4:5]
	s_cbranch_execz .LBB13_32
; %bb.23:
	v_add_f32_e32 v3, 0xbf490fdb, v8
	v_and_b32_e32 v9, 0x7fffffff, v3
	s_brev_b32 s4, 18
	v_cmp_nlt_f32_e64 s[14:15], |v3|, s4
	v_lshrrev_b32_e32 v14, 23, v9
                                        ; implicit-def: $vgpr10
                                        ; implicit-def: $vgpr11
	s_and_saveexec_b64 s[4:5], s[14:15]
	s_xor_b64 s[16:17], exec, s[4:5]
	s_cbranch_execz .LBB13_25
; %bb.24:
	v_add_u32_e32 v10, 0xffffff88, v14
	v_not_b32_e32 v12, 63
	v_cmp_lt_u32_e32 vcc, 63, v10
	v_cndmask_b32_e32 v12, 0, v12, vcc
	v_add_u32_e32 v10, v12, v10
	v_not_b32_e32 v12, 31
	v_cmp_lt_u32_e64 s[4:5], 31, v10
	v_cndmask_b32_e64 v13, 0, v12, s[4:5]
	v_add_u32_e32 v10, v13, v10
	v_cmp_lt_u32_e64 s[6:7], 31, v10
	v_cndmask_b32_e64 v12, 0, v12, s[6:7]
	v_add_u32_e32 v15, v12, v10
	v_and_b32_e32 v10, 0x7fffff, v9
	v_or_b32_e32 v26, 0x800000, v10
	s_mov_b32 s8, 0xfe5163ab
	v_mad_u64_u32 v[12:13], s[8:9], v26, s8, 0
	v_mov_b32_e32 v11, 0
	v_mov_b32_e32 v10, v13
	s_mov_b32 s8, 0x3c439041
	v_mad_u64_u32 v[16:17], s[8:9], v26, s8, v[10:11]
	v_mov_b32_e32 v10, v17
	s_mov_b32 s8, 0xdb629599
	v_mad_u64_u32 v[18:19], s[8:9], v26, s8, v[10:11]
	;; [unrolled: 3-line block ×6, first 2 shown]
	v_cndmask_b32_e32 v13, v24, v20, vcc
	v_cndmask_b32_e32 v10, v10, v22, vcc
	;; [unrolled: 1-line block ×3, first 2 shown]
	v_cndmask_b32_e64 v17, v10, v13, s[4:5]
	v_cndmask_b32_e64 v10, v11, v10, s[4:5]
	v_cndmask_b32_e32 v11, v22, v18, vcc
	v_cndmask_b32_e64 v13, v13, v11, s[4:5]
	v_sub_u32_e32 v19, 32, v15
	v_cmp_eq_u32_e64 s[8:9], 0, v15
	v_cndmask_b32_e32 v15, v20, v16, vcc
	v_cndmask_b32_e64 v10, v10, v17, s[6:7]
	v_cndmask_b32_e64 v17, v17, v13, s[6:7]
	;; [unrolled: 1-line block ×3, first 2 shown]
	v_alignbit_b32 v21, v10, v17, v19
	v_cndmask_b32_e64 v13, v13, v11, s[6:7]
	v_cndmask_b32_e64 v10, v21, v10, s[8:9]
	v_alignbit_b32 v16, v17, v13, v19
	v_cndmask_b32_e64 v16, v16, v17, s[8:9]
	v_bfe_u32 v21, v10, 29, 1
	v_cndmask_b32_e32 v12, v18, v12, vcc
	v_alignbit_b32 v17, v10, v16, 30
	v_sub_u32_e32 v22, 0, v21
	v_cndmask_b32_e64 v12, v15, v12, s[4:5]
	v_xor_b32_e32 v23, v17, v22
	v_cndmask_b32_e64 v11, v11, v12, s[6:7]
	v_alignbit_b32 v12, v13, v11, v19
	v_ffbh_u32_e32 v15, v23
	v_cndmask_b32_e64 v12, v12, v13, s[8:9]
	v_add_u32_e32 v15, 1, v15
	v_cmp_ne_u32_e32 vcc, v17, v22
	v_alignbit_b32 v13, v16, v12, 30
	v_cndmask_b32_e32 v15, 33, v15, vcc
	v_alignbit_b32 v11, v12, v11, 30
	v_xor_b32_e32 v13, v13, v22
	v_sub_u32_e32 v16, 32, v15
	v_xor_b32_e32 v11, v11, v22
	v_alignbit_b32 v17, v23, v13, v16
	v_alignbit_b32 v11, v13, v11, v16
	;; [unrolled: 1-line block ×3, first 2 shown]
	v_ffbh_u32_e32 v13, v12
	v_min_u32_e32 v13, 32, v13
	v_lshrrev_b32_e32 v20, 29, v10
	v_sub_u32_e32 v16, 31, v13
	v_alignbit_b32 v11, v12, v11, v16
	v_lshlrev_b32_e32 v12, 31, v20
	v_or_b32_e32 v16, 0x33800000, v12
	v_add_lshl_u32 v13, v13, v15, 23
	v_lshrrev_b32_e32 v11, 9, v11
	v_sub_u32_e32 v13, v16, v13
	v_or_b32_e32 v11, v13, v11
	v_alignbit_b32 v13, v15, v17, 9
	v_or_b32_e32 v12, v13, v12
	v_xor_b32_e32 v12, 1.0, v12
	s_mov_b32 s4, 0x3fc90fda
	v_mul_f32_e32 v13, 0x3fc90fda, v12
	v_fma_f32 v15, v12, s4, -v13
	v_fmac_f32_e32 v15, 0x33a22168, v12
	v_fmac_f32_e32 v15, 0x3fc90fda, v11
	v_lshrrev_b32_e32 v10, 30, v10
	v_add_f32_e32 v11, v13, v15
	v_add_u32_e32 v10, v21, v10
	s_andn2_saveexec_b64 s[4:5], s[16:17]
	s_branch .LBB13_26
.LBB13_25:
	s_andn2_saveexec_b64 s[4:5], s[16:17]
.LBB13_26:
	s_mov_b32 s6, 0x3f22f983
	v_mul_f32_e64 v10, |v3|, s6
	v_rndne_f32_e32 v12, v10
	s_mov_b32 s6, 0xbfc90fda
	v_cvt_i32_f32_e32 v10, v12
	v_fma_f32 v11, v12, s6, |v3|
	v_fmac_f32_e32 v11, 0xb3a22168, v12
	v_fmac_f32_e32 v11, 0xa7c234c4, v12
; %bb.27:
	s_or_b64 exec, exec, s[4:5]
                                        ; implicit-def: $vgpr12
                                        ; implicit-def: $vgpr13
	s_and_saveexec_b64 s[4:5], s[14:15]
	s_xor_b64 s[14:15], exec, s[4:5]
	s_cbranch_execz .LBB13_29
; %bb.28:
	v_add_u32_e32 v12, 0xffffff88, v14
	v_not_b32_e32 v14, 63
	v_cmp_lt_u32_e32 vcc, 63, v12
	v_cndmask_b32_e32 v14, 0, v14, vcc
	v_add_u32_e32 v12, v14, v12
	v_not_b32_e32 v14, 31
	v_cmp_lt_u32_e64 s[4:5], 31, v12
	v_cndmask_b32_e64 v15, 0, v14, s[4:5]
	v_add_u32_e32 v12, v15, v12
	v_cmp_lt_u32_e64 s[6:7], 31, v12
	v_cndmask_b32_e64 v14, 0, v14, s[6:7]
	v_add_u32_e32 v26, v14, v12
	v_and_b32_e32 v12, 0x7fffff, v9
	v_or_b32_e32 v27, 0x800000, v12
	s_mov_b32 s8, 0xfe5163ab
	v_mad_u64_u32 v[14:15], s[8:9], v27, s8, 0
	v_mov_b32_e32 v13, 0
	v_mov_b32_e32 v12, v15
	s_mov_b32 s8, 0x3c439041
	v_mad_u64_u32 v[16:17], s[8:9], v27, s8, v[12:13]
	v_mov_b32_e32 v12, v17
	s_mov_b32 s8, 0xdb629599
	v_mad_u64_u32 v[18:19], s[8:9], v27, s8, v[12:13]
	;; [unrolled: 3-line block ×6, first 2 shown]
	v_cndmask_b32_e32 v15, v24, v20, vcc
	v_cndmask_b32_e32 v12, v12, v22, vcc
	;; [unrolled: 1-line block ×3, first 2 shown]
	v_cndmask_b32_e64 v17, v12, v15, s[4:5]
	v_cndmask_b32_e64 v12, v13, v12, s[4:5]
	v_cndmask_b32_e32 v13, v22, v18, vcc
	v_cndmask_b32_e64 v15, v15, v13, s[4:5]
	v_cndmask_b32_e32 v16, v20, v16, vcc
	v_cndmask_b32_e64 v12, v12, v17, s[6:7]
	v_cndmask_b32_e64 v17, v17, v15, s[6:7]
	v_sub_u32_e32 v19, 32, v26
	v_cndmask_b32_e64 v13, v13, v16, s[4:5]
	v_alignbit_b32 v21, v12, v17, v19
	v_cmp_eq_u32_e64 s[8:9], 0, v26
	v_cndmask_b32_e64 v15, v15, v13, s[6:7]
	v_cndmask_b32_e64 v12, v21, v12, s[8:9]
	v_alignbit_b32 v20, v17, v15, v19
	v_cndmask_b32_e64 v17, v20, v17, s[8:9]
	v_bfe_u32 v22, v12, 29, 1
	v_cndmask_b32_e32 v14, v18, v14, vcc
	v_alignbit_b32 v20, v12, v17, 30
	v_sub_u32_e32 v23, 0, v22
	v_cndmask_b32_e64 v14, v16, v14, s[4:5]
	v_xor_b32_e32 v24, v20, v23
	v_cndmask_b32_e64 v13, v13, v14, s[6:7]
	v_alignbit_b32 v14, v15, v13, v19
	v_ffbh_u32_e32 v16, v24
	v_cndmask_b32_e64 v14, v14, v15, s[8:9]
	v_add_u32_e32 v16, 1, v16
	v_cmp_ne_u32_e32 vcc, v20, v23
	v_alignbit_b32 v15, v17, v14, 30
	v_cndmask_b32_e32 v16, 33, v16, vcc
	v_alignbit_b32 v13, v14, v13, 30
	v_xor_b32_e32 v15, v15, v23
	v_sub_u32_e32 v17, 32, v16
	v_xor_b32_e32 v13, v13, v23
	v_alignbit_b32 v18, v24, v15, v17
	v_alignbit_b32 v13, v15, v13, v17
	;; [unrolled: 1-line block ×3, first 2 shown]
	v_ffbh_u32_e32 v15, v14
	v_min_u32_e32 v15, 32, v15
	v_lshrrev_b32_e32 v21, 29, v12
	v_sub_u32_e32 v17, 31, v15
	v_alignbit_b32 v13, v14, v13, v17
	v_lshlrev_b32_e32 v14, 31, v21
	v_or_b32_e32 v17, 0x33800000, v14
	v_add_lshl_u32 v15, v15, v16, 23
	v_lshrrev_b32_e32 v13, 9, v13
	v_sub_u32_e32 v15, v17, v15
	v_or_b32_e32 v13, v15, v13
	v_alignbit_b32 v15, v16, v18, 9
	v_or_b32_e32 v14, v15, v14
	v_xor_b32_e32 v14, 1.0, v14
	s_mov_b32 s4, 0x3fc90fda
	v_mul_f32_e32 v15, 0x3fc90fda, v14
	v_fma_f32 v16, v14, s4, -v15
	v_fmac_f32_e32 v16, 0x33a22168, v14
	v_fmac_f32_e32 v16, 0x3fc90fda, v13
	v_lshrrev_b32_e32 v12, 30, v12
	v_add_f32_e32 v13, v15, v16
	v_add_u32_e32 v12, v22, v12
	s_andn2_saveexec_b64 s[4:5], s[14:15]
	s_cbranch_execnz .LBB13_30
	s_branch .LBB13_31
.LBB13_29:
	s_andn2_saveexec_b64 s[4:5], s[14:15]
.LBB13_30:
	s_mov_b32 s6, 0x3f22f983
	v_mul_f32_e64 v12, |v3|, s6
	v_rndne_f32_e32 v14, v12
	s_mov_b32 s6, 0xbfc90fda
	v_cvt_i32_f32_e32 v12, v14
	v_fma_f32 v13, v14, s6, |v3|
	v_fmac_f32_e32 v13, 0xb3a22168, v14
	v_fmac_f32_e32 v13, 0xa7c234c4, v14
.LBB13_31:
	s_or_b64 exec, exec, s[4:5]
	s_mov_b32 s6, 0x41c80000
	v_div_scale_f32 v14, s[4:5], v6, v6, s6
	v_rcp_f32_e32 v15, v14
	v_div_scale_f32 v16, vcc, s6, v6, s6
	v_mov_b32_e32 v22, 0xbf000004
	v_fma_f32 v17, -v14, v15, 1.0
	v_fmac_f32_e32 v15, v17, v15
	v_mul_f32_e32 v17, v16, v15
	v_fma_f32 v18, -v14, v17, v16
	v_fmac_f32_e32 v17, v18, v15
	v_fma_f32 v14, -v14, v17, v16
	v_div_fmas_f32 v14, v14, v15, v17
	v_div_fixup_f32 v6, v14, v6, s6
	v_mov_b32_e32 v14, 0x3a50e985
	v_fmac_f32_e32 v14, 0, v6
	v_mov_b32_e32 v15, 0x3da9a586
	v_fmac_f32_e32 v15, v6, v14
	v_mov_b32_e32 v14, 0x3f9ea90a
	v_fmac_f32_e32 v14, v6, v15
	v_mov_b32_e32 v15, 0x40ae4fdf
	v_fmac_f32_e32 v15, v6, v14
	v_mov_b32_e32 v14, 0x410bf463
	v_fmac_f32_e32 v14, v6, v15
	v_mov_b32_e32 v15, 0x40a9b425
	v_fmac_f32_e32 v15, v6, v14
	v_mov_b32_e32 v14, 0x3a725406
	v_fmac_f32_e32 v14, 0, v6
	v_mov_b32_e32 v16, 0x3daf5e2d
	v_fmac_f32_e32 v16, v6, v14
	v_mov_b32_e32 v14, 0x3fa07396
	v_fmac_f32_e32 v14, v6, v16
	v_mov_b32_e32 v16, 0x40af123f
	v_fmac_f32_e32 v16, v6, v14
	v_mov_b32_e32 v14, 0x410c30c7
	v_fmac_f32_e32 v14, v6, v16
	v_mov_b32_e32 v16, 0x40a9cb2f
	v_fmac_f32_e32 v16, v6, v14
	v_fma_f32 v14, v6, v16, 1.0
	v_mov_b32_e32 v16, 0xbc3a3a12
	v_fmac_f32_e32 v16, 0, v6
	v_mov_b32_e32 v17, 0xbfa429da
	v_fmac_f32_e32 v17, v6, v16
	;; [unrolled: 2-line block ×9, first 2 shown]
	v_mov_b32_e32 v18, 0x44561b86
	v_fma_f32 v15, v6, v15, 1.0
	v_fmac_f32_e32 v18, v6, v16
	v_mov_b32_e32 v16, 0x4572a66e
	v_div_scale_f32 v19, s[4:5], v14, v14, v15
	v_fmac_f32_e32 v16, v6, v18
	v_mov_b32_e32 v18, 0x45e243be
	v_rcp_f32_e32 v20, v19
	v_fmac_f32_e32 v18, v6, v16
	v_mov_b32_e32 v16, 0x45b955d1
	v_fmac_f32_e32 v16, v6, v18
	v_mov_b32_e32 v18, 0x4500e17e
	;; [unrolled: 2-line block ×3, first 2 shown]
	v_fmac_f32_e32 v16, v6, v18
	v_fma_f32 v6, -v19, v20, 1.0
	v_fmac_f32_e32 v20, v6, v20
	v_div_scale_f32 v6, vcc, v15, v14, v15
	v_mul_f32_e32 v18, v6, v20
	v_fma_f32 v21, -v19, v18, v6
	v_fmac_f32_e32 v18, v21, v20
	v_fma_f32 v6, -v19, v18, v6
	v_div_fmas_f32 v6, v6, v20, v18
	v_div_fixup_f32 v6, v6, v14, v15
	v_mul_f32_e32 v14, v11, v11
	v_mov_b32_e32 v20, 0xbab64f3b
	v_mov_b32_e32 v18, 0x3c0881c4
	v_fmac_f32_e32 v20, 0x37d75334, v14
	v_mov_b32_e32 v21, 0x3d2aabf7
	v_fmac_f32_e32 v18, 0xb94c1982, v14
	v_mov_b32_e32 v19, 0xbe2aaa9d
	v_fma_f32 v20, v14, v20, v21
	v_fma_f32 v18, v14, v18, v19
	;; [unrolled: 1-line block ×3, first 2 shown]
	v_mul_f32_e32 v18, v14, v18
	v_fma_f32 v14, v14, v20, 1.0
	v_and_b32_e32 v20, 1, v10
	v_fmac_f32_e32 v11, v11, v18
	v_cmp_eq_u32_e32 vcc, 0, v20
	v_lshlrev_b32_e32 v10, 30, v10
	v_cndmask_b32_e64 v11, -v11, v14, vcc
	v_and_b32_e32 v10, 0x80000000, v10
	s_mov_b32 s8, 0xc0a00000
	v_xor_b32_e32 v10, v10, v11
	v_div_scale_f32 v11, s[4:5], v8, v8, s8
	v_rcp_f32_e32 v14, v11
	s_movk_i32 s6, 0x1f8
	v_cmp_class_f32_e64 s[4:5], v3, s6
	v_mov_b32_e32 v15, 0x3c0881c4
	v_fma_f32 v23, -v11, v14, 1.0
	v_fmac_f32_e32 v14, v23, v14
	v_div_scale_f32 v23, vcc, s8, v8, s8
	v_mul_f32_e32 v24, v23, v14
	v_fma_f32 v25, -v11, v24, v23
	v_fmac_f32_e32 v24, v25, v14
	v_fma_f32 v11, -v11, v24, v23
	v_div_scale_f32 v23, s[6:7], v16, v16, v17
	v_rcp_f32_e32 v25, v23
	v_div_fmas_f32 v11, v11, v14, v24
	v_div_fixup_f32 v11, v11, v8, s8
	v_mov_b32_e32 v18, 0xbab64f3b
	v_fma_f32 v14, -v23, v25, 1.0
	v_fmac_f32_e32 v25, v14, v25
	v_div_scale_f32 v14, vcc, v17, v16, v17
	v_mul_f32_e32 v24, v14, v25
	v_fma_f32 v26, -v23, v24, v14
	v_fmac_f32_e32 v24, v26, v25
	v_fma_f32 v14, -v23, v24, v14
	v_div_fmas_f32 v14, v14, v25, v24
	v_div_fixup_f32 v14, v14, v16, v17
	v_mul_f32_e32 v11, v11, v14
	v_mul_f32_e32 v14, v13, v13
	v_fmac_f32_e32 v15, 0xb94c1982, v14
	v_fmac_f32_e32 v19, v14, v15
	;; [unrolled: 1-line block ×3, first 2 shown]
	v_mul_f32_e32 v15, v14, v19
	v_fmac_f32_e32 v21, v14, v18
	v_fmac_f32_e32 v13, v13, v15
	;; [unrolled: 1-line block ×3, first 2 shown]
	v_and_b32_e32 v15, 1, v12
	v_lshlrev_b32_e32 v12, 30, v12
	v_fma_f32 v14, v14, v22, 1.0
	v_cmp_eq_u32_e32 vcc, 0, v15
	v_and_b32_e32 v12, 0x80000000, v12
	v_xor_b32_e32 v3, v9, v3
	v_cndmask_b32_e32 v13, v14, v13, vcc
	v_xor_b32_e32 v3, v3, v12
	v_mov_b32_e32 v20, 0x7fc00000
	v_xor_b32_e32 v3, v3, v13
	v_cndmask_b32_e64 v10, v20, v10, s[4:5]
	v_cndmask_b32_e64 v3, v20, v3, s[4:5]
	s_mov_b32 s4, 0xf800000
	v_mul_f32_e32 v9, 0x4f800000, v8
	v_cmp_gt_f32_e32 vcc, s4, v8
	v_cndmask_b32_e32 v8, v8, v9, vcc
	v_sqrt_f32_e32 v9, v8
	v_mul_f32_e32 v3, v11, v3
	v_fmac_f32_e32 v3, v6, v10
	v_mul_f32_e32 v3, 0x3f4c422a, v3
	v_add_u32_e32 v6, -1, v9
	v_fma_f32 v10, -v6, v9, v8
	v_cmp_ge_f32_e64 s[4:5], 0, v10
	v_add_u32_e32 v10, 1, v9
	v_cndmask_b32_e64 v6, v9, v6, s[4:5]
	v_fma_f32 v9, -v10, v9, v8
	v_cmp_lt_f32_e64 s[4:5], 0, v9
	v_cndmask_b32_e64 v6, v6, v10, s[4:5]
	v_mul_f32_e32 v9, 0x37800000, v6
	v_cndmask_b32_e32 v6, v6, v9, vcc
	v_mov_b32_e32 v9, 0x260
	v_cmp_class_f32_e32 vcc, v8, v9
	v_cndmask_b32_e32 v6, v6, v8, vcc
	v_div_scale_f32 v8, s[4:5], v6, v6, v3
	v_rcp_f32_e32 v9, v8
	v_fma_f32 v10, -v8, v9, 1.0
	v_fmac_f32_e32 v9, v10, v9
	v_div_scale_f32 v10, vcc, v3, v6, v3
	v_mul_f32_e32 v11, v10, v9
	v_fma_f32 v12, -v8, v11, v10
	v_fmac_f32_e32 v11, v12, v9
	v_fma_f32 v8, -v8, v11, v10
	v_div_fmas_f32 v8, v8, v9, v11
	v_div_fixup_f32 v3, v8, v6, v3
.LBB13_32:
	s_or_b64 exec, exec, s[12:13]
	v_cmp_gt_f32_e32 vcc, 0, v4
	v_cndmask_b32_e64 v8, v4, -v4, vcc
	s_mov_b32 s4, 0x40a00000
	v_cmp_ge_f32_e32 vcc, s4, v8
	v_mul_f32_e32 v6, v8, v8
	s_and_saveexec_b64 s[4:5], vcc
	s_xor_b64 s[4:5], exec, s[4:5]
	s_cbranch_execz .LBB13_38
; %bb.33:
	s_mov_b32 s6, 0x3727c5ac
	v_cmp_ngt_f32_e32 vcc, s6, v8
	s_and_saveexec_b64 s[6:7], vcc
	s_xor_b64 s[6:7], exec, s[6:7]
	s_cbranch_execz .LBB13_35
; %bb.34:
	v_mov_b32_e32 v4, 0x43f9c815
	v_fmac_f32_e32 v4, 0, v6
	v_mov_b32_e32 v9, 0x4829b65a
	v_fmac_f32_e32 v9, v6, v4
	;; [unrolled: 2-line block ×4, first 2 shown]
	s_mov_b32 s8, 0xcf8ee29d
	v_mul_f32_e32 v8, 0, v6
	v_mul_f32_e32 v9, v6, v9
	s_mov_b32 s9, 0x53f5f59c
	v_pk_add_f32 v[8:9], v[8:9], s[8:9]
	s_mov_b32 s8, 0x53e3ba8e
	s_mov_b32 s9, 0x578d3514
	v_pk_fma_f32 v[8:9], v[6:7], v[8:9], s[8:9] op_sel_hi:[0,1,1]
	s_mov_b32 s8, 0xd762b0a7
	s_mov_b32 s9, 0x5ae20a0c
	v_pk_fma_f32 v[8:9], v[6:7], v[8:9], s[8:9] op_sel_hi:[0,1,1]
	s_mov_b32 s8, 0x5a09f7c3
	s_mov_b32 s9, 0x5dbdf1a6
	v_pk_fma_f32 v[8:9], v[6:7], v[8:9], s[8:9] op_sel_hi:[0,1,1]
	s_mov_b32 s8, 0xc0b90fdc
	s_mov_b32 s9, 0xc1f3c525
	v_pk_add_f32 v[10:11], v[6:7], s[8:9] op_sel_hi:[0,1]
	v_mul_f32_e32 v4, v10, v11
	v_mul_f32_e32 v4, v4, v8
	v_div_scale_f32 v6, s[8:9], v9, v9, v4
	v_rcp_f32_e32 v8, v6
	v_fma_f32 v10, -v6, v8, 1.0
	v_fmac_f32_e32 v8, v10, v8
	v_div_scale_f32 v10, vcc, v4, v9, v4
	v_mul_f32_e32 v11, v10, v8
	v_fma_f32 v12, -v6, v11, v10
	v_fmac_f32_e32 v11, v12, v8
	v_fma_f32 v6, -v6, v11, v10
	v_div_fmas_f32 v6, v6, v8, v11
	v_div_fixup_f32 v4, v6, v9, v4
                                        ; implicit-def: $vgpr6
.LBB13_35:
	s_andn2_saveexec_b64 s[6:7], s[6:7]
; %bb.36:
	s_mov_b32 s8, 0xbe800000
	v_fma_f32 v4, v6, s8, 1.0
; %bb.37:
	s_or_b64 exec, exec, s[6:7]
                                        ; implicit-def: $vgpr6
                                        ; implicit-def: $vgpr8
.LBB13_38:
	s_andn2_saveexec_b64 s[12:13], s[4:5]
	s_cbranch_execz .LBB13_48
; %bb.39:
	v_add_f32_e32 v4, 0xbf490fdb, v8
	v_and_b32_e32 v9, 0x7fffffff, v4
	s_brev_b32 s4, 18
	v_cmp_nlt_f32_e64 s[14:15], |v4|, s4
	v_lshrrev_b32_e32 v14, 23, v9
                                        ; implicit-def: $vgpr10
                                        ; implicit-def: $vgpr11
	s_and_saveexec_b64 s[4:5], s[14:15]
	s_xor_b64 s[16:17], exec, s[4:5]
	s_cbranch_execz .LBB13_41
; %bb.40:
	v_add_u32_e32 v10, 0xffffff88, v14
	v_not_b32_e32 v12, 63
	v_cmp_lt_u32_e32 vcc, 63, v10
	v_cndmask_b32_e32 v12, 0, v12, vcc
	v_add_u32_e32 v10, v12, v10
	v_not_b32_e32 v12, 31
	v_cmp_lt_u32_e64 s[4:5], 31, v10
	v_cndmask_b32_e64 v13, 0, v12, s[4:5]
	v_add_u32_e32 v10, v13, v10
	v_cmp_lt_u32_e64 s[6:7], 31, v10
	v_cndmask_b32_e64 v12, 0, v12, s[6:7]
	v_add_u32_e32 v15, v12, v10
	v_and_b32_e32 v10, 0x7fffff, v9
	v_or_b32_e32 v26, 0x800000, v10
	s_mov_b32 s8, 0xfe5163ab
	v_mad_u64_u32 v[12:13], s[8:9], v26, s8, 0
	v_mov_b32_e32 v11, 0
	v_mov_b32_e32 v10, v13
	s_mov_b32 s8, 0x3c439041
	v_mad_u64_u32 v[16:17], s[8:9], v26, s8, v[10:11]
	v_mov_b32_e32 v10, v17
	s_mov_b32 s8, 0xdb629599
	v_mad_u64_u32 v[18:19], s[8:9], v26, s8, v[10:11]
	;; [unrolled: 3-line block ×6, first 2 shown]
	v_cndmask_b32_e32 v13, v24, v20, vcc
	v_cndmask_b32_e32 v10, v10, v22, vcc
	;; [unrolled: 1-line block ×3, first 2 shown]
	v_cndmask_b32_e64 v17, v10, v13, s[4:5]
	v_cndmask_b32_e64 v10, v11, v10, s[4:5]
	v_cndmask_b32_e32 v11, v22, v18, vcc
	v_cndmask_b32_e64 v13, v13, v11, s[4:5]
	v_sub_u32_e32 v19, 32, v15
	v_cmp_eq_u32_e64 s[8:9], 0, v15
	v_cndmask_b32_e32 v15, v20, v16, vcc
	v_cndmask_b32_e64 v10, v10, v17, s[6:7]
	v_cndmask_b32_e64 v17, v17, v13, s[6:7]
	;; [unrolled: 1-line block ×3, first 2 shown]
	v_alignbit_b32 v21, v10, v17, v19
	v_cndmask_b32_e64 v13, v13, v11, s[6:7]
	v_cndmask_b32_e64 v10, v21, v10, s[8:9]
	v_alignbit_b32 v16, v17, v13, v19
	v_cndmask_b32_e64 v16, v16, v17, s[8:9]
	v_bfe_u32 v21, v10, 29, 1
	v_cndmask_b32_e32 v12, v18, v12, vcc
	v_alignbit_b32 v17, v10, v16, 30
	v_sub_u32_e32 v22, 0, v21
	v_cndmask_b32_e64 v12, v15, v12, s[4:5]
	v_xor_b32_e32 v23, v17, v22
	v_cndmask_b32_e64 v11, v11, v12, s[6:7]
	v_alignbit_b32 v12, v13, v11, v19
	v_ffbh_u32_e32 v15, v23
	v_cndmask_b32_e64 v12, v12, v13, s[8:9]
	v_add_u32_e32 v15, 1, v15
	v_cmp_ne_u32_e32 vcc, v17, v22
	v_alignbit_b32 v13, v16, v12, 30
	v_cndmask_b32_e32 v15, 33, v15, vcc
	v_alignbit_b32 v11, v12, v11, 30
	v_xor_b32_e32 v13, v13, v22
	v_sub_u32_e32 v16, 32, v15
	v_xor_b32_e32 v11, v11, v22
	v_alignbit_b32 v17, v23, v13, v16
	v_alignbit_b32 v11, v13, v11, v16
	;; [unrolled: 1-line block ×3, first 2 shown]
	v_ffbh_u32_e32 v13, v12
	v_min_u32_e32 v13, 32, v13
	v_lshrrev_b32_e32 v20, 29, v10
	v_sub_u32_e32 v16, 31, v13
	v_alignbit_b32 v11, v12, v11, v16
	v_lshlrev_b32_e32 v12, 31, v20
	v_or_b32_e32 v16, 0x33800000, v12
	v_add_lshl_u32 v13, v13, v15, 23
	v_lshrrev_b32_e32 v11, 9, v11
	v_sub_u32_e32 v13, v16, v13
	v_or_b32_e32 v11, v13, v11
	v_alignbit_b32 v13, v15, v17, 9
	v_or_b32_e32 v12, v13, v12
	v_xor_b32_e32 v12, 1.0, v12
	s_mov_b32 s4, 0x3fc90fda
	v_mul_f32_e32 v13, 0x3fc90fda, v12
	v_fma_f32 v15, v12, s4, -v13
	v_fmac_f32_e32 v15, 0x33a22168, v12
	v_fmac_f32_e32 v15, 0x3fc90fda, v11
	v_lshrrev_b32_e32 v10, 30, v10
	v_add_f32_e32 v11, v13, v15
	v_add_u32_e32 v10, v21, v10
	s_andn2_saveexec_b64 s[4:5], s[16:17]
	s_branch .LBB13_42
.LBB13_41:
	s_andn2_saveexec_b64 s[4:5], s[16:17]
.LBB13_42:
	s_mov_b32 s6, 0x3f22f983
	v_mul_f32_e64 v10, |v4|, s6
	v_rndne_f32_e32 v12, v10
	s_mov_b32 s6, 0xbfc90fda
	v_cvt_i32_f32_e32 v10, v12
	v_fma_f32 v11, v12, s6, |v4|
	v_fmac_f32_e32 v11, 0xb3a22168, v12
	v_fmac_f32_e32 v11, 0xa7c234c4, v12
; %bb.43:
	s_or_b64 exec, exec, s[4:5]
                                        ; implicit-def: $vgpr12
                                        ; implicit-def: $vgpr13
	s_and_saveexec_b64 s[4:5], s[14:15]
	s_xor_b64 s[14:15], exec, s[4:5]
	s_cbranch_execz .LBB13_45
; %bb.44:
	v_add_u32_e32 v12, 0xffffff88, v14
	v_not_b32_e32 v14, 63
	v_cmp_lt_u32_e32 vcc, 63, v12
	v_cndmask_b32_e32 v14, 0, v14, vcc
	v_add_u32_e32 v12, v14, v12
	v_not_b32_e32 v14, 31
	v_cmp_lt_u32_e64 s[4:5], 31, v12
	v_cndmask_b32_e64 v15, 0, v14, s[4:5]
	v_add_u32_e32 v12, v15, v12
	v_cmp_lt_u32_e64 s[6:7], 31, v12
	v_cndmask_b32_e64 v14, 0, v14, s[6:7]
	v_add_u32_e32 v26, v14, v12
	v_and_b32_e32 v12, 0x7fffff, v9
	v_or_b32_e32 v27, 0x800000, v12
	s_mov_b32 s8, 0xfe5163ab
	v_mad_u64_u32 v[14:15], s[8:9], v27, s8, 0
	v_mov_b32_e32 v13, 0
	v_mov_b32_e32 v12, v15
	s_mov_b32 s8, 0x3c439041
	v_mad_u64_u32 v[16:17], s[8:9], v27, s8, v[12:13]
	v_mov_b32_e32 v12, v17
	s_mov_b32 s8, 0xdb629599
	v_mad_u64_u32 v[18:19], s[8:9], v27, s8, v[12:13]
	v_mov_b32_e32 v12, v19
	s_mov_b32 s8, 0xf534ddc0
	v_mad_u64_u32 v[20:21], s[8:9], v27, s8, v[12:13]
	v_mov_b32_e32 v12, v21
	s_mov_b32 s8, 0xfc2757d1
	v_mad_u64_u32 v[22:23], s[8:9], v27, s8, v[12:13]
	v_mov_b32_e32 v12, v23
	s_mov_b32 s8, 0x4e441529
	v_mad_u64_u32 v[24:25], s[8:9], v27, s8, v[12:13]
	v_mov_b32_e32 v12, v25
	s_mov_b32 s8, 0xa2f9836e
	v_mad_u64_u32 v[12:13], s[8:9], v27, s8, v[12:13]
	v_cndmask_b32_e32 v15, v24, v20, vcc
	v_cndmask_b32_e32 v12, v12, v22, vcc
	;; [unrolled: 1-line block ×3, first 2 shown]
	v_cndmask_b32_e64 v17, v12, v15, s[4:5]
	v_cndmask_b32_e64 v12, v13, v12, s[4:5]
	v_cndmask_b32_e32 v13, v22, v18, vcc
	v_cndmask_b32_e64 v15, v15, v13, s[4:5]
	v_cndmask_b32_e32 v16, v20, v16, vcc
	v_cndmask_b32_e64 v12, v12, v17, s[6:7]
	v_cndmask_b32_e64 v17, v17, v15, s[6:7]
	v_sub_u32_e32 v19, 32, v26
	v_cndmask_b32_e64 v13, v13, v16, s[4:5]
	v_alignbit_b32 v21, v12, v17, v19
	v_cmp_eq_u32_e64 s[8:9], 0, v26
	v_cndmask_b32_e64 v15, v15, v13, s[6:7]
	v_cndmask_b32_e64 v12, v21, v12, s[8:9]
	v_alignbit_b32 v20, v17, v15, v19
	v_cndmask_b32_e64 v17, v20, v17, s[8:9]
	v_bfe_u32 v22, v12, 29, 1
	v_cndmask_b32_e32 v14, v18, v14, vcc
	v_alignbit_b32 v20, v12, v17, 30
	v_sub_u32_e32 v23, 0, v22
	v_cndmask_b32_e64 v14, v16, v14, s[4:5]
	v_xor_b32_e32 v24, v20, v23
	v_cndmask_b32_e64 v13, v13, v14, s[6:7]
	v_alignbit_b32 v14, v15, v13, v19
	v_ffbh_u32_e32 v16, v24
	v_cndmask_b32_e64 v14, v14, v15, s[8:9]
	v_add_u32_e32 v16, 1, v16
	v_cmp_ne_u32_e32 vcc, v20, v23
	v_alignbit_b32 v15, v17, v14, 30
	v_cndmask_b32_e32 v16, 33, v16, vcc
	v_alignbit_b32 v13, v14, v13, 30
	v_xor_b32_e32 v15, v15, v23
	v_sub_u32_e32 v17, 32, v16
	v_xor_b32_e32 v13, v13, v23
	v_alignbit_b32 v18, v24, v15, v17
	v_alignbit_b32 v13, v15, v13, v17
	;; [unrolled: 1-line block ×3, first 2 shown]
	v_ffbh_u32_e32 v15, v14
	v_min_u32_e32 v15, 32, v15
	v_lshrrev_b32_e32 v21, 29, v12
	v_sub_u32_e32 v17, 31, v15
	v_alignbit_b32 v13, v14, v13, v17
	v_lshlrev_b32_e32 v14, 31, v21
	v_or_b32_e32 v17, 0x33800000, v14
	v_add_lshl_u32 v15, v15, v16, 23
	v_lshrrev_b32_e32 v13, 9, v13
	v_sub_u32_e32 v15, v17, v15
	v_or_b32_e32 v13, v15, v13
	v_alignbit_b32 v15, v16, v18, 9
	v_or_b32_e32 v14, v15, v14
	v_xor_b32_e32 v14, 1.0, v14
	s_mov_b32 s4, 0x3fc90fda
	v_mul_f32_e32 v15, 0x3fc90fda, v14
	v_fma_f32 v16, v14, s4, -v15
	v_fmac_f32_e32 v16, 0x33a22168, v14
	v_fmac_f32_e32 v16, 0x3fc90fda, v13
	v_lshrrev_b32_e32 v12, 30, v12
	v_add_f32_e32 v13, v15, v16
	v_add_u32_e32 v12, v22, v12
	s_andn2_saveexec_b64 s[4:5], s[14:15]
	s_cbranch_execnz .LBB13_46
	s_branch .LBB13_47
.LBB13_45:
	s_andn2_saveexec_b64 s[4:5], s[14:15]
.LBB13_46:
	s_mov_b32 s6, 0x3f22f983
	v_mul_f32_e64 v12, |v4|, s6
	v_rndne_f32_e32 v14, v12
	s_mov_b32 s6, 0xbfc90fda
	v_cvt_i32_f32_e32 v12, v14
	v_fma_f32 v13, v14, s6, |v4|
	v_fmac_f32_e32 v13, 0xb3a22168, v14
	v_fmac_f32_e32 v13, 0xa7c234c4, v14
.LBB13_47:
	s_or_b64 exec, exec, s[4:5]
	s_mov_b32 s6, 0x41c80000
	v_div_scale_f32 v14, s[4:5], v6, v6, s6
	v_rcp_f32_e32 v15, v14
	v_div_scale_f32 v16, vcc, s6, v6, s6
	v_mov_b32_e32 v22, 0xbf000004
	v_fma_f32 v17, -v14, v15, 1.0
	v_fmac_f32_e32 v15, v17, v15
	v_mul_f32_e32 v17, v16, v15
	v_fma_f32 v18, -v14, v17, v16
	v_fmac_f32_e32 v17, v18, v15
	v_fma_f32 v14, -v14, v17, v16
	v_div_fmas_f32 v14, v14, v15, v17
	v_div_fixup_f32 v6, v14, v6, s6
	v_mov_b32_e32 v14, 0x3a50e985
	v_fmac_f32_e32 v14, 0, v6
	v_mov_b32_e32 v15, 0x3da9a586
	v_fmac_f32_e32 v15, v6, v14
	;; [unrolled: 2-line block ×12, first 2 shown]
	v_fma_f32 v14, v6, v16, 1.0
	v_mov_b32_e32 v16, 0xbc3a3a12
	v_fmac_f32_e32 v16, 0, v6
	v_mov_b32_e32 v17, 0xbfa429da
	v_fmac_f32_e32 v17, v6, v16
	;; [unrolled: 2-line block ×9, first 2 shown]
	v_mov_b32_e32 v18, 0x44561b86
	v_fma_f32 v15, v6, v15, 1.0
	v_fmac_f32_e32 v18, v6, v16
	v_mov_b32_e32 v16, 0x4572a66e
	v_div_scale_f32 v19, s[4:5], v14, v14, v15
	v_fmac_f32_e32 v16, v6, v18
	v_mov_b32_e32 v18, 0x45e243be
	v_rcp_f32_e32 v20, v19
	v_fmac_f32_e32 v18, v6, v16
	v_mov_b32_e32 v16, 0x45b955d1
	v_fmac_f32_e32 v16, v6, v18
	v_mov_b32_e32 v18, 0x4500e17e
	;; [unrolled: 2-line block ×3, first 2 shown]
	v_fmac_f32_e32 v16, v6, v18
	v_fma_f32 v6, -v19, v20, 1.0
	v_fmac_f32_e32 v20, v6, v20
	v_div_scale_f32 v6, vcc, v15, v14, v15
	v_mul_f32_e32 v18, v6, v20
	v_fma_f32 v21, -v19, v18, v6
	v_fmac_f32_e32 v18, v21, v20
	v_fma_f32 v6, -v19, v18, v6
	v_div_fmas_f32 v6, v6, v20, v18
	v_div_fixup_f32 v6, v6, v14, v15
	v_mul_f32_e32 v14, v11, v11
	v_mov_b32_e32 v20, 0xbab64f3b
	v_mov_b32_e32 v18, 0x3c0881c4
	v_fmac_f32_e32 v20, 0x37d75334, v14
	v_mov_b32_e32 v21, 0x3d2aabf7
	v_fmac_f32_e32 v18, 0xb94c1982, v14
	v_mov_b32_e32 v19, 0xbe2aaa9d
	v_fma_f32 v20, v14, v20, v21
	v_fma_f32 v18, v14, v18, v19
	;; [unrolled: 1-line block ×3, first 2 shown]
	v_mul_f32_e32 v18, v14, v18
	v_fma_f32 v14, v14, v20, 1.0
	v_and_b32_e32 v20, 1, v10
	v_fmac_f32_e32 v11, v11, v18
	v_cmp_eq_u32_e32 vcc, 0, v20
	v_lshlrev_b32_e32 v10, 30, v10
	v_cndmask_b32_e64 v11, -v11, v14, vcc
	v_and_b32_e32 v10, 0x80000000, v10
	s_mov_b32 s8, 0xc0a00000
	v_xor_b32_e32 v10, v10, v11
	v_div_scale_f32 v11, s[4:5], v8, v8, s8
	v_rcp_f32_e32 v14, v11
	s_movk_i32 s6, 0x1f8
	v_cmp_class_f32_e64 s[4:5], v4, s6
	v_mov_b32_e32 v15, 0x3c0881c4
	v_fma_f32 v23, -v11, v14, 1.0
	v_fmac_f32_e32 v14, v23, v14
	v_div_scale_f32 v23, vcc, s8, v8, s8
	v_mul_f32_e32 v24, v23, v14
	v_fma_f32 v25, -v11, v24, v23
	v_fmac_f32_e32 v24, v25, v14
	v_fma_f32 v11, -v11, v24, v23
	v_div_scale_f32 v23, s[6:7], v16, v16, v17
	v_rcp_f32_e32 v25, v23
	v_div_fmas_f32 v11, v11, v14, v24
	v_div_fixup_f32 v11, v11, v8, s8
	v_mov_b32_e32 v18, 0xbab64f3b
	v_fma_f32 v14, -v23, v25, 1.0
	v_fmac_f32_e32 v25, v14, v25
	v_div_scale_f32 v14, vcc, v17, v16, v17
	v_mul_f32_e32 v24, v14, v25
	v_fma_f32 v26, -v23, v24, v14
	v_fmac_f32_e32 v24, v26, v25
	v_fma_f32 v14, -v23, v24, v14
	v_div_fmas_f32 v14, v14, v25, v24
	v_div_fixup_f32 v14, v14, v16, v17
	v_mul_f32_e32 v11, v11, v14
	v_mul_f32_e32 v14, v13, v13
	v_fmac_f32_e32 v15, 0xb94c1982, v14
	v_fmac_f32_e32 v19, v14, v15
	;; [unrolled: 1-line block ×3, first 2 shown]
	v_mul_f32_e32 v15, v14, v19
	v_fmac_f32_e32 v21, v14, v18
	v_fmac_f32_e32 v13, v13, v15
	;; [unrolled: 1-line block ×3, first 2 shown]
	v_and_b32_e32 v15, 1, v12
	v_lshlrev_b32_e32 v12, 30, v12
	v_fma_f32 v14, v14, v22, 1.0
	v_cmp_eq_u32_e32 vcc, 0, v15
	v_and_b32_e32 v12, 0x80000000, v12
	v_xor_b32_e32 v4, v9, v4
	v_cndmask_b32_e32 v13, v14, v13, vcc
	v_xor_b32_e32 v4, v4, v12
	v_mov_b32_e32 v20, 0x7fc00000
	v_xor_b32_e32 v4, v4, v13
	v_cndmask_b32_e64 v10, v20, v10, s[4:5]
	v_cndmask_b32_e64 v4, v20, v4, s[4:5]
	s_mov_b32 s4, 0xf800000
	v_mul_f32_e32 v9, 0x4f800000, v8
	v_cmp_gt_f32_e32 vcc, s4, v8
	v_cndmask_b32_e32 v8, v8, v9, vcc
	v_sqrt_f32_e32 v9, v8
	v_mul_f32_e32 v4, v11, v4
	v_fmac_f32_e32 v4, v6, v10
	v_mul_f32_e32 v4, 0x3f4c422a, v4
	v_add_u32_e32 v6, -1, v9
	v_fma_f32 v10, -v6, v9, v8
	v_cmp_ge_f32_e64 s[4:5], 0, v10
	v_add_u32_e32 v10, 1, v9
	v_cndmask_b32_e64 v6, v9, v6, s[4:5]
	v_fma_f32 v9, -v10, v9, v8
	v_cmp_lt_f32_e64 s[4:5], 0, v9
	v_cndmask_b32_e64 v6, v6, v10, s[4:5]
	v_mul_f32_e32 v9, 0x37800000, v6
	v_cndmask_b32_e32 v6, v6, v9, vcc
	v_mov_b32_e32 v9, 0x260
	v_cmp_class_f32_e32 vcc, v8, v9
	v_cndmask_b32_e32 v6, v6, v8, vcc
	v_div_scale_f32 v8, s[4:5], v6, v6, v4
	v_rcp_f32_e32 v9, v8
	v_fma_f32 v10, -v8, v9, 1.0
	v_fmac_f32_e32 v9, v10, v9
	v_div_scale_f32 v10, vcc, v4, v6, v4
	v_mul_f32_e32 v11, v10, v9
	v_fma_f32 v12, -v8, v11, v10
	v_fmac_f32_e32 v11, v12, v9
	v_fma_f32 v8, -v8, v11, v10
	v_div_fmas_f32 v8, v8, v9, v11
	v_div_fixup_f32 v4, v8, v6, v4
.LBB13_48:
	s_or_b64 exec, exec, s[12:13]
	v_cmp_gt_f32_e32 vcc, 0, v5
	v_cndmask_b32_e64 v8, v5, -v5, vcc
	s_mov_b32 s4, 0x40a00000
	v_cmp_ge_f32_e32 vcc, s4, v8
	v_mul_f32_e32 v6, v8, v8
	s_and_saveexec_b64 s[4:5], vcc
	s_xor_b64 s[4:5], exec, s[4:5]
	s_cbranch_execz .LBB13_54
; %bb.49:
	s_mov_b32 s6, 0x3727c5ac
	v_cmp_ngt_f32_e32 vcc, s6, v8
	s_and_saveexec_b64 s[6:7], vcc
	s_xor_b64 s[6:7], exec, s[6:7]
	s_cbranch_execz .LBB13_51
; %bb.50:
	v_mov_b32_e32 v5, 0x43f9c815
	v_fmac_f32_e32 v5, 0, v6
	v_mov_b32_e32 v9, 0x4829b65a
	v_fmac_f32_e32 v9, v6, v5
	;; [unrolled: 2-line block ×4, first 2 shown]
	s_mov_b32 s8, 0xcf8ee29d
	v_mul_f32_e32 v8, 0, v6
	v_mul_f32_e32 v9, v6, v9
	s_mov_b32 s9, 0x53f5f59c
	v_pk_add_f32 v[8:9], v[8:9], s[8:9]
	s_mov_b32 s8, 0x53e3ba8e
	s_mov_b32 s9, 0x578d3514
	v_pk_fma_f32 v[8:9], v[6:7], v[8:9], s[8:9] op_sel_hi:[0,1,1]
	s_mov_b32 s8, 0xd762b0a7
	s_mov_b32 s9, 0x5ae20a0c
	v_pk_fma_f32 v[8:9], v[6:7], v[8:9], s[8:9] op_sel_hi:[0,1,1]
	;; [unrolled: 3-line block ×3, first 2 shown]
	s_mov_b32 s8, 0xc0b90fdc
	s_mov_b32 s9, 0xc1f3c525
	v_pk_add_f32 v[10:11], v[6:7], s[8:9] op_sel_hi:[0,1]
	v_mul_f32_e32 v5, v10, v11
	v_mul_f32_e32 v5, v5, v8
	v_div_scale_f32 v6, s[8:9], v9, v9, v5
	v_rcp_f32_e32 v8, v6
	v_fma_f32 v10, -v6, v8, 1.0
	v_fmac_f32_e32 v8, v10, v8
	v_div_scale_f32 v10, vcc, v5, v9, v5
	v_mul_f32_e32 v11, v10, v8
	v_fma_f32 v12, -v6, v11, v10
	v_fmac_f32_e32 v11, v12, v8
	v_fma_f32 v6, -v6, v11, v10
	v_div_fmas_f32 v6, v6, v8, v11
	v_div_fixup_f32 v5, v6, v9, v5
                                        ; implicit-def: $vgpr6
.LBB13_51:
	s_andn2_saveexec_b64 s[6:7], s[6:7]
; %bb.52:
	s_mov_b32 s8, 0xbe800000
	v_fma_f32 v5, v6, s8, 1.0
; %bb.53:
	s_or_b64 exec, exec, s[6:7]
                                        ; implicit-def: $vgpr6
                                        ; implicit-def: $vgpr8
.LBB13_54:
	s_andn2_saveexec_b64 s[12:13], s[4:5]
	s_cbranch_execz .LBB13_64
; %bb.55:
	v_add_f32_e32 v5, 0xbf490fdb, v8
	v_and_b32_e32 v9, 0x7fffffff, v5
	s_brev_b32 s4, 18
	v_cmp_nlt_f32_e64 s[14:15], |v5|, s4
	v_lshrrev_b32_e32 v14, 23, v9
                                        ; implicit-def: $vgpr10
                                        ; implicit-def: $vgpr11
	s_and_saveexec_b64 s[4:5], s[14:15]
	s_xor_b64 s[16:17], exec, s[4:5]
	s_cbranch_execz .LBB13_57
; %bb.56:
	v_add_u32_e32 v10, 0xffffff88, v14
	v_not_b32_e32 v12, 63
	v_cmp_lt_u32_e32 vcc, 63, v10
	v_cndmask_b32_e32 v12, 0, v12, vcc
	v_add_u32_e32 v10, v12, v10
	v_not_b32_e32 v12, 31
	v_cmp_lt_u32_e64 s[4:5], 31, v10
	v_cndmask_b32_e64 v13, 0, v12, s[4:5]
	v_add_u32_e32 v10, v13, v10
	v_cmp_lt_u32_e64 s[6:7], 31, v10
	v_cndmask_b32_e64 v12, 0, v12, s[6:7]
	v_add_u32_e32 v15, v12, v10
	v_and_b32_e32 v10, 0x7fffff, v9
	v_or_b32_e32 v26, 0x800000, v10
	s_mov_b32 s8, 0xfe5163ab
	v_mad_u64_u32 v[12:13], s[8:9], v26, s8, 0
	v_mov_b32_e32 v11, 0
	v_mov_b32_e32 v10, v13
	s_mov_b32 s8, 0x3c439041
	v_mad_u64_u32 v[16:17], s[8:9], v26, s8, v[10:11]
	v_mov_b32_e32 v10, v17
	s_mov_b32 s8, 0xdb629599
	v_mad_u64_u32 v[18:19], s[8:9], v26, s8, v[10:11]
	;; [unrolled: 3-line block ×6, first 2 shown]
	v_cndmask_b32_e32 v13, v24, v20, vcc
	v_cndmask_b32_e32 v10, v10, v22, vcc
	;; [unrolled: 1-line block ×3, first 2 shown]
	v_cndmask_b32_e64 v17, v10, v13, s[4:5]
	v_cndmask_b32_e64 v10, v11, v10, s[4:5]
	v_cndmask_b32_e32 v11, v22, v18, vcc
	v_cndmask_b32_e64 v13, v13, v11, s[4:5]
	v_sub_u32_e32 v19, 32, v15
	v_cmp_eq_u32_e64 s[8:9], 0, v15
	v_cndmask_b32_e32 v15, v20, v16, vcc
	v_cndmask_b32_e64 v10, v10, v17, s[6:7]
	v_cndmask_b32_e64 v17, v17, v13, s[6:7]
	;; [unrolled: 1-line block ×3, first 2 shown]
	v_alignbit_b32 v21, v10, v17, v19
	v_cndmask_b32_e64 v13, v13, v11, s[6:7]
	v_cndmask_b32_e64 v10, v21, v10, s[8:9]
	v_alignbit_b32 v16, v17, v13, v19
	v_cndmask_b32_e64 v16, v16, v17, s[8:9]
	v_bfe_u32 v21, v10, 29, 1
	v_cndmask_b32_e32 v12, v18, v12, vcc
	v_alignbit_b32 v17, v10, v16, 30
	v_sub_u32_e32 v22, 0, v21
	v_cndmask_b32_e64 v12, v15, v12, s[4:5]
	v_xor_b32_e32 v23, v17, v22
	v_cndmask_b32_e64 v11, v11, v12, s[6:7]
	v_alignbit_b32 v12, v13, v11, v19
	v_ffbh_u32_e32 v15, v23
	v_cndmask_b32_e64 v12, v12, v13, s[8:9]
	v_add_u32_e32 v15, 1, v15
	v_cmp_ne_u32_e32 vcc, v17, v22
	v_alignbit_b32 v13, v16, v12, 30
	v_cndmask_b32_e32 v15, 33, v15, vcc
	v_alignbit_b32 v11, v12, v11, 30
	v_xor_b32_e32 v13, v13, v22
	v_sub_u32_e32 v16, 32, v15
	v_xor_b32_e32 v11, v11, v22
	v_alignbit_b32 v17, v23, v13, v16
	v_alignbit_b32 v11, v13, v11, v16
	;; [unrolled: 1-line block ×3, first 2 shown]
	v_ffbh_u32_e32 v13, v12
	v_min_u32_e32 v13, 32, v13
	v_lshrrev_b32_e32 v20, 29, v10
	v_sub_u32_e32 v16, 31, v13
	v_alignbit_b32 v11, v12, v11, v16
	v_lshlrev_b32_e32 v12, 31, v20
	v_or_b32_e32 v16, 0x33800000, v12
	v_add_lshl_u32 v13, v13, v15, 23
	v_lshrrev_b32_e32 v11, 9, v11
	v_sub_u32_e32 v13, v16, v13
	v_or_b32_e32 v11, v13, v11
	v_alignbit_b32 v13, v15, v17, 9
	v_or_b32_e32 v12, v13, v12
	v_xor_b32_e32 v12, 1.0, v12
	s_mov_b32 s4, 0x3fc90fda
	v_mul_f32_e32 v13, 0x3fc90fda, v12
	v_fma_f32 v15, v12, s4, -v13
	v_fmac_f32_e32 v15, 0x33a22168, v12
	v_fmac_f32_e32 v15, 0x3fc90fda, v11
	v_lshrrev_b32_e32 v10, 30, v10
	v_add_f32_e32 v11, v13, v15
	v_add_u32_e32 v10, v21, v10
	s_andn2_saveexec_b64 s[4:5], s[16:17]
	s_branch .LBB13_58
.LBB13_57:
	s_andn2_saveexec_b64 s[4:5], s[16:17]
.LBB13_58:
	s_mov_b32 s6, 0x3f22f983
	v_mul_f32_e64 v10, |v5|, s6
	v_rndne_f32_e32 v12, v10
	s_mov_b32 s6, 0xbfc90fda
	v_cvt_i32_f32_e32 v10, v12
	v_fma_f32 v11, v12, s6, |v5|
	v_fmac_f32_e32 v11, 0xb3a22168, v12
	v_fmac_f32_e32 v11, 0xa7c234c4, v12
; %bb.59:
	s_or_b64 exec, exec, s[4:5]
                                        ; implicit-def: $vgpr12
                                        ; implicit-def: $vgpr13
	s_and_saveexec_b64 s[4:5], s[14:15]
	s_xor_b64 s[14:15], exec, s[4:5]
	s_cbranch_execz .LBB13_61
; %bb.60:
	v_add_u32_e32 v12, 0xffffff88, v14
	v_not_b32_e32 v14, 63
	v_cmp_lt_u32_e32 vcc, 63, v12
	v_cndmask_b32_e32 v14, 0, v14, vcc
	v_add_u32_e32 v12, v14, v12
	v_not_b32_e32 v14, 31
	v_cmp_lt_u32_e64 s[4:5], 31, v12
	v_cndmask_b32_e64 v15, 0, v14, s[4:5]
	v_add_u32_e32 v12, v15, v12
	v_cmp_lt_u32_e64 s[6:7], 31, v12
	v_cndmask_b32_e64 v14, 0, v14, s[6:7]
	v_add_u32_e32 v26, v14, v12
	v_and_b32_e32 v12, 0x7fffff, v9
	v_or_b32_e32 v27, 0x800000, v12
	s_mov_b32 s8, 0xfe5163ab
	v_mad_u64_u32 v[14:15], s[8:9], v27, s8, 0
	v_mov_b32_e32 v13, 0
	v_mov_b32_e32 v12, v15
	s_mov_b32 s8, 0x3c439041
	v_mad_u64_u32 v[16:17], s[8:9], v27, s8, v[12:13]
	v_mov_b32_e32 v12, v17
	s_mov_b32 s8, 0xdb629599
	v_mad_u64_u32 v[18:19], s[8:9], v27, s8, v[12:13]
	;; [unrolled: 3-line block ×6, first 2 shown]
	v_cndmask_b32_e32 v15, v24, v20, vcc
	v_cndmask_b32_e32 v12, v12, v22, vcc
	;; [unrolled: 1-line block ×3, first 2 shown]
	v_cndmask_b32_e64 v17, v12, v15, s[4:5]
	v_cndmask_b32_e64 v12, v13, v12, s[4:5]
	v_cndmask_b32_e32 v13, v22, v18, vcc
	v_cndmask_b32_e64 v15, v15, v13, s[4:5]
	v_cndmask_b32_e32 v16, v20, v16, vcc
	v_cndmask_b32_e64 v12, v12, v17, s[6:7]
	v_cndmask_b32_e64 v17, v17, v15, s[6:7]
	v_sub_u32_e32 v19, 32, v26
	v_cndmask_b32_e64 v13, v13, v16, s[4:5]
	v_alignbit_b32 v21, v12, v17, v19
	v_cmp_eq_u32_e64 s[8:9], 0, v26
	v_cndmask_b32_e64 v15, v15, v13, s[6:7]
	v_cndmask_b32_e64 v12, v21, v12, s[8:9]
	v_alignbit_b32 v20, v17, v15, v19
	v_cndmask_b32_e64 v17, v20, v17, s[8:9]
	v_bfe_u32 v22, v12, 29, 1
	v_cndmask_b32_e32 v14, v18, v14, vcc
	v_alignbit_b32 v20, v12, v17, 30
	v_sub_u32_e32 v23, 0, v22
	v_cndmask_b32_e64 v14, v16, v14, s[4:5]
	v_xor_b32_e32 v24, v20, v23
	v_cndmask_b32_e64 v13, v13, v14, s[6:7]
	v_alignbit_b32 v14, v15, v13, v19
	v_ffbh_u32_e32 v16, v24
	v_cndmask_b32_e64 v14, v14, v15, s[8:9]
	v_add_u32_e32 v16, 1, v16
	v_cmp_ne_u32_e32 vcc, v20, v23
	v_alignbit_b32 v15, v17, v14, 30
	v_cndmask_b32_e32 v16, 33, v16, vcc
	v_alignbit_b32 v13, v14, v13, 30
	v_xor_b32_e32 v15, v15, v23
	v_sub_u32_e32 v17, 32, v16
	v_xor_b32_e32 v13, v13, v23
	v_alignbit_b32 v18, v24, v15, v17
	v_alignbit_b32 v13, v15, v13, v17
	;; [unrolled: 1-line block ×3, first 2 shown]
	v_ffbh_u32_e32 v15, v14
	v_min_u32_e32 v15, 32, v15
	v_lshrrev_b32_e32 v21, 29, v12
	v_sub_u32_e32 v17, 31, v15
	v_alignbit_b32 v13, v14, v13, v17
	v_lshlrev_b32_e32 v14, 31, v21
	v_or_b32_e32 v17, 0x33800000, v14
	v_add_lshl_u32 v15, v15, v16, 23
	v_lshrrev_b32_e32 v13, 9, v13
	v_sub_u32_e32 v15, v17, v15
	v_or_b32_e32 v13, v15, v13
	v_alignbit_b32 v15, v16, v18, 9
	v_or_b32_e32 v14, v15, v14
	v_xor_b32_e32 v14, 1.0, v14
	s_mov_b32 s4, 0x3fc90fda
	v_mul_f32_e32 v15, 0x3fc90fda, v14
	v_fma_f32 v16, v14, s4, -v15
	v_fmac_f32_e32 v16, 0x33a22168, v14
	v_fmac_f32_e32 v16, 0x3fc90fda, v13
	v_lshrrev_b32_e32 v12, 30, v12
	v_add_f32_e32 v13, v15, v16
	v_add_u32_e32 v12, v22, v12
	s_andn2_saveexec_b64 s[4:5], s[14:15]
	s_cbranch_execnz .LBB13_62
	s_branch .LBB13_63
.LBB13_61:
	s_andn2_saveexec_b64 s[4:5], s[14:15]
.LBB13_62:
	s_mov_b32 s6, 0x3f22f983
	v_mul_f32_e64 v12, |v5|, s6
	v_rndne_f32_e32 v14, v12
	s_mov_b32 s6, 0xbfc90fda
	v_cvt_i32_f32_e32 v12, v14
	v_fma_f32 v13, v14, s6, |v5|
	v_fmac_f32_e32 v13, 0xb3a22168, v14
	v_fmac_f32_e32 v13, 0xa7c234c4, v14
.LBB13_63:
	s_or_b64 exec, exec, s[4:5]
	s_mov_b32 s6, 0x41c80000
	v_div_scale_f32 v14, s[4:5], v6, v6, s6
	v_rcp_f32_e32 v15, v14
	v_div_scale_f32 v16, vcc, s6, v6, s6
	v_mov_b32_e32 v22, 0xbf000004
	v_fma_f32 v17, -v14, v15, 1.0
	v_fmac_f32_e32 v15, v17, v15
	v_mul_f32_e32 v17, v16, v15
	v_fma_f32 v18, -v14, v17, v16
	v_fmac_f32_e32 v17, v18, v15
	v_fma_f32 v14, -v14, v17, v16
	v_div_fmas_f32 v14, v14, v15, v17
	v_div_fixup_f32 v6, v14, v6, s6
	v_mov_b32_e32 v14, 0x3a50e985
	v_fmac_f32_e32 v14, 0, v6
	v_mov_b32_e32 v15, 0x3da9a586
	v_fmac_f32_e32 v15, v6, v14
	;; [unrolled: 2-line block ×12, first 2 shown]
	v_fma_f32 v14, v6, v16, 1.0
	v_mov_b32_e32 v16, 0xbc3a3a12
	v_fmac_f32_e32 v16, 0, v6
	v_mov_b32_e32 v17, 0xbfa429da
	v_fmac_f32_e32 v17, v6, v16
	;; [unrolled: 2-line block ×9, first 2 shown]
	v_mov_b32_e32 v18, 0x44561b86
	v_fma_f32 v15, v6, v15, 1.0
	v_fmac_f32_e32 v18, v6, v16
	v_mov_b32_e32 v16, 0x4572a66e
	v_div_scale_f32 v19, s[4:5], v14, v14, v15
	v_fmac_f32_e32 v16, v6, v18
	v_mov_b32_e32 v18, 0x45e243be
	v_rcp_f32_e32 v20, v19
	v_fmac_f32_e32 v18, v6, v16
	v_mov_b32_e32 v16, 0x45b955d1
	v_fmac_f32_e32 v16, v6, v18
	v_mov_b32_e32 v18, 0x4500e17e
	;; [unrolled: 2-line block ×3, first 2 shown]
	v_fmac_f32_e32 v16, v6, v18
	v_fma_f32 v6, -v19, v20, 1.0
	v_fmac_f32_e32 v20, v6, v20
	v_div_scale_f32 v6, vcc, v15, v14, v15
	v_mul_f32_e32 v18, v6, v20
	v_fma_f32 v21, -v19, v18, v6
	v_fmac_f32_e32 v18, v21, v20
	v_fma_f32 v6, -v19, v18, v6
	v_div_fmas_f32 v6, v6, v20, v18
	v_div_fixup_f32 v6, v6, v14, v15
	v_mul_f32_e32 v14, v11, v11
	v_mov_b32_e32 v20, 0xbab64f3b
	v_mov_b32_e32 v18, 0x3c0881c4
	v_fmac_f32_e32 v20, 0x37d75334, v14
	v_mov_b32_e32 v21, 0x3d2aabf7
	v_fmac_f32_e32 v18, 0xb94c1982, v14
	v_mov_b32_e32 v19, 0xbe2aaa9d
	v_fma_f32 v20, v14, v20, v21
	v_fma_f32 v18, v14, v18, v19
	;; [unrolled: 1-line block ×3, first 2 shown]
	v_mul_f32_e32 v18, v14, v18
	v_fma_f32 v14, v14, v20, 1.0
	v_and_b32_e32 v20, 1, v10
	v_fmac_f32_e32 v11, v11, v18
	v_cmp_eq_u32_e32 vcc, 0, v20
	v_lshlrev_b32_e32 v10, 30, v10
	v_cndmask_b32_e64 v11, -v11, v14, vcc
	v_and_b32_e32 v10, 0x80000000, v10
	s_mov_b32 s8, 0xc0a00000
	v_xor_b32_e32 v10, v10, v11
	v_div_scale_f32 v11, s[4:5], v8, v8, s8
	v_rcp_f32_e32 v14, v11
	s_movk_i32 s6, 0x1f8
	v_cmp_class_f32_e64 s[4:5], v5, s6
	v_mov_b32_e32 v15, 0x3c0881c4
	v_fma_f32 v23, -v11, v14, 1.0
	v_fmac_f32_e32 v14, v23, v14
	v_div_scale_f32 v23, vcc, s8, v8, s8
	v_mul_f32_e32 v24, v23, v14
	v_fma_f32 v25, -v11, v24, v23
	v_fmac_f32_e32 v24, v25, v14
	v_fma_f32 v11, -v11, v24, v23
	v_div_scale_f32 v23, s[6:7], v16, v16, v17
	v_rcp_f32_e32 v25, v23
	v_div_fmas_f32 v11, v11, v14, v24
	v_div_fixup_f32 v11, v11, v8, s8
	v_mov_b32_e32 v18, 0xbab64f3b
	v_fma_f32 v14, -v23, v25, 1.0
	v_fmac_f32_e32 v25, v14, v25
	v_div_scale_f32 v14, vcc, v17, v16, v17
	v_mul_f32_e32 v24, v14, v25
	v_fma_f32 v26, -v23, v24, v14
	v_fmac_f32_e32 v24, v26, v25
	v_fma_f32 v14, -v23, v24, v14
	v_div_fmas_f32 v14, v14, v25, v24
	v_div_fixup_f32 v14, v14, v16, v17
	v_mul_f32_e32 v11, v11, v14
	v_mul_f32_e32 v14, v13, v13
	v_fmac_f32_e32 v15, 0xb94c1982, v14
	v_fmac_f32_e32 v19, v14, v15
	;; [unrolled: 1-line block ×3, first 2 shown]
	v_mul_f32_e32 v15, v14, v19
	v_fmac_f32_e32 v21, v14, v18
	v_fmac_f32_e32 v13, v13, v15
	v_fmac_f32_e32 v22, v14, v21
	v_and_b32_e32 v15, 1, v12
	v_lshlrev_b32_e32 v12, 30, v12
	v_fma_f32 v14, v14, v22, 1.0
	v_cmp_eq_u32_e32 vcc, 0, v15
	v_and_b32_e32 v12, 0x80000000, v12
	v_xor_b32_e32 v5, v9, v5
	v_cndmask_b32_e32 v13, v14, v13, vcc
	v_xor_b32_e32 v5, v5, v12
	v_mov_b32_e32 v20, 0x7fc00000
	v_xor_b32_e32 v5, v5, v13
	v_cndmask_b32_e64 v10, v20, v10, s[4:5]
	v_cndmask_b32_e64 v5, v20, v5, s[4:5]
	s_mov_b32 s4, 0xf800000
	v_mul_f32_e32 v9, 0x4f800000, v8
	v_cmp_gt_f32_e32 vcc, s4, v8
	v_cndmask_b32_e32 v8, v8, v9, vcc
	v_sqrt_f32_e32 v9, v8
	v_mul_f32_e32 v5, v11, v5
	v_fmac_f32_e32 v5, v6, v10
	v_mul_f32_e32 v5, 0x3f4c422a, v5
	v_add_u32_e32 v6, -1, v9
	v_fma_f32 v10, -v6, v9, v8
	v_cmp_ge_f32_e64 s[4:5], 0, v10
	v_add_u32_e32 v10, 1, v9
	v_cndmask_b32_e64 v6, v9, v6, s[4:5]
	v_fma_f32 v9, -v10, v9, v8
	v_cmp_lt_f32_e64 s[4:5], 0, v9
	v_cndmask_b32_e64 v6, v6, v10, s[4:5]
	v_mul_f32_e32 v9, 0x37800000, v6
	v_cndmask_b32_e32 v6, v6, v9, vcc
	v_mov_b32_e32 v9, 0x260
	v_cmp_class_f32_e32 vcc, v8, v9
	v_cndmask_b32_e32 v6, v6, v8, vcc
	v_div_scale_f32 v8, s[4:5], v6, v6, v5
	v_rcp_f32_e32 v9, v8
	v_fma_f32 v10, -v8, v9, 1.0
	v_fmac_f32_e32 v9, v10, v9
	v_div_scale_f32 v10, vcc, v5, v6, v5
	v_mul_f32_e32 v11, v10, v9
	v_fma_f32 v12, -v8, v11, v10
	v_fmac_f32_e32 v11, v12, v9
	v_fma_f32 v8, -v8, v11, v10
	v_div_fmas_f32 v8, v8, v9, v11
	v_div_fixup_f32 v5, v8, v6, v5
.LBB13_64:
	s_or_b64 exec, exec, s[12:13]
	v_mov_b32_e32 v6, s11
	v_add_co_u32_e32 v0, vcc, s10, v0
	v_addc_co_u32_e32 v1, vcc, v1, v6, vcc
	v_add_co_u32_e32 v0, vcc, v0, v7
	v_addc_co_u32_e32 v1, vcc, 0, v1, vcc
	flat_store_dwordx4 v[0:1], v[2:5]
	s_waitcnt vmcnt(0) lgkmcnt(0)
	s_setpc_b64 s[30:31]
.Lfunc_end13:
	.size	_ZN2at6native25elementwise_kernel_helperILb0EZZZNS0_12_GLOBAL__N_121bessel_j0_kernel_cudaERNS_18TensorIteratorBaseEENKUlvE_clEvENKUlvE0_clEvEUlfE_NS0_6memory8policies10vectorizedILi4ESt5arrayIPcLm2EELi4EEEEEvT0_T1_, .Lfunc_end13-_ZN2at6native25elementwise_kernel_helperILb0EZZZNS0_12_GLOBAL__N_121bessel_j0_kernel_cudaERNS_18TensorIteratorBaseEENKUlvE_clEvENKUlvE0_clEvEUlfE_NS0_6memory8policies10vectorizedILi4ESt5arrayIPcLm2EELi4EEEEEvT0_T1_
                                        ; -- End function
	.section	.AMDGPU.csdata,"",@progbits
; Function info:
; codeLenInByte = 11568
; NumSgprs: 36
; NumVgprs: 32
; NumAgprs: 0
; TotalNumVgprs: 32
; ScratchSize: 0
; MemoryBound: 0
	.section	.text._ZN2at6native29vectorized_elementwise_kernelILi16EZZZNS0_12_GLOBAL__N_121bessel_j0_kernel_cudaERNS_18TensorIteratorBaseEENKUlvE_clEvENKUlvE0_clEvEUlfE_St5arrayIPcLm2EEEEviT0_T1_,"axG",@progbits,_ZN2at6native29vectorized_elementwise_kernelILi16EZZZNS0_12_GLOBAL__N_121bessel_j0_kernel_cudaERNS_18TensorIteratorBaseEENKUlvE_clEvENKUlvE0_clEvEUlfE_St5arrayIPcLm2EEEEviT0_T1_,comdat
	.globl	_ZN2at6native29vectorized_elementwise_kernelILi16EZZZNS0_12_GLOBAL__N_121bessel_j0_kernel_cudaERNS_18TensorIteratorBaseEENKUlvE_clEvENKUlvE0_clEvEUlfE_St5arrayIPcLm2EEEEviT0_T1_ ; -- Begin function _ZN2at6native29vectorized_elementwise_kernelILi16EZZZNS0_12_GLOBAL__N_121bessel_j0_kernel_cudaERNS_18TensorIteratorBaseEENKUlvE_clEvENKUlvE0_clEvEUlfE_St5arrayIPcLm2EEEEviT0_T1_
	.p2align	8
	.type	_ZN2at6native29vectorized_elementwise_kernelILi16EZZZNS0_12_GLOBAL__N_121bessel_j0_kernel_cudaERNS_18TensorIteratorBaseEENKUlvE_clEvENKUlvE0_clEvEUlfE_St5arrayIPcLm2EEEEviT0_T1_,@function
_ZN2at6native29vectorized_elementwise_kernelILi16EZZZNS0_12_GLOBAL__N_121bessel_j0_kernel_cudaERNS_18TensorIteratorBaseEENKUlvE_clEvENKUlvE0_clEvEUlfE_St5arrayIPcLm2EEEEviT0_T1_: ; @_ZN2at6native29vectorized_elementwise_kernelILi16EZZZNS0_12_GLOBAL__N_121bessel_j0_kernel_cudaERNS_18TensorIteratorBaseEENKUlvE_clEvENKUlvE0_clEvEUlfE_St5arrayIPcLm2EEEEviT0_T1_
; %bb.0:
	s_add_u32 flat_scratch_lo, s6, s9
	s_load_dword s6, s[4:5], 0x0
	s_load_dwordx4 s[20:23], s[4:5], 0x8
	s_addc_u32 flat_scratch_hi, s7, 0
	s_add_u32 s0, s0, s9
	s_addc_u32 s1, s1, 0
	s_lshl_b32 s4, s8, 10
	s_waitcnt lgkmcnt(0)
	s_sub_i32 s19, s6, s4
	s_mov_b32 s18, s8
	v_mov_b32_e32 v31, v0
	s_cmpk_gt_i32 s19, 0x3ff
	s_mov_b64 s[4:5], -1
	s_mov_b32 s32, 0
	s_cbranch_scc1 .LBB14_3
; %bb.1:
	s_andn2_b64 vcc, exec, s[4:5]
	s_cbranch_vccz .LBB14_4
.LBB14_2:
	s_endpgm
.LBB14_3:
	s_mov_b32 s12, s18
	v_mov_b32_e32 v0, s20
	v_mov_b32_e32 v1, s21
	;; [unrolled: 1-line block ×4, first 2 shown]
	s_getpc_b64 s[4:5]
	s_add_u32 s4, s4, _ZN2at6native25elementwise_kernel_helperILb0EZZZNS0_12_GLOBAL__N_121bessel_j0_kernel_cudaERNS_18TensorIteratorBaseEENKUlvE_clEvENKUlvE0_clEvEUlfE_NS0_6memory8policies10vectorizedILi4ESt5arrayIPcLm2EELi4EEEEEvT0_T1_@rel32@lo+4
	s_addc_u32 s5, s5, _ZN2at6native25elementwise_kernel_helperILb0EZZZNS0_12_GLOBAL__N_121bessel_j0_kernel_cudaERNS_18TensorIteratorBaseEENKUlvE_clEvENKUlvE0_clEvEUlfE_NS0_6memory8policies10vectorizedILi4ESt5arrayIPcLm2EELi4EEEEEvT0_T1_@rel32@hi+12
	s_swappc_b64 s[30:31], s[4:5]
	s_cbranch_execnz .LBB14_2
.LBB14_4:
	s_mov_b32 s12, s18
	v_mov_b32_e32 v0, s20
	v_mov_b32_e32 v1, s21
	;; [unrolled: 1-line block ×5, first 2 shown]
	s_getpc_b64 s[4:5]
	s_add_u32 s4, s4, _ZN2at6native25elementwise_kernel_helperILb0EZZZNS0_12_GLOBAL__N_121bessel_j0_kernel_cudaERNS_18TensorIteratorBaseEENKUlvE_clEvENKUlvE0_clEvEUlfE_NS0_6memory8policies11unroll_baseILi256ESt5arrayIPcLm2EE23TrivialOffsetCalculatorILi1EjESF_NS8_15LoadWithoutCastENS8_16StoreWithoutCastELi4ELi1EEEEEvT0_T1_@rel32@lo+4
	s_addc_u32 s5, s5, _ZN2at6native25elementwise_kernel_helperILb0EZZZNS0_12_GLOBAL__N_121bessel_j0_kernel_cudaERNS_18TensorIteratorBaseEENKUlvE_clEvENKUlvE0_clEvEUlfE_NS0_6memory8policies11unroll_baseILi256ESt5arrayIPcLm2EE23TrivialOffsetCalculatorILi1EjESF_NS8_15LoadWithoutCastENS8_16StoreWithoutCastELi4ELi1EEEEEvT0_T1_@rel32@hi+12
	s_swappc_b64 s[30:31], s[4:5]
	s_endpgm
	.section	.rodata,"a",@progbits
	.p2align	6, 0x0
	.amdhsa_kernel _ZN2at6native29vectorized_elementwise_kernelILi16EZZZNS0_12_GLOBAL__N_121bessel_j0_kernel_cudaERNS_18TensorIteratorBaseEENKUlvE_clEvENKUlvE0_clEvEUlfE_St5arrayIPcLm2EEEEviT0_T1_
		.amdhsa_group_segment_fixed_size 0
		.amdhsa_private_segment_fixed_size 0
		.amdhsa_kernarg_size 24
		.amdhsa_user_sgpr_count 8
		.amdhsa_user_sgpr_private_segment_buffer 1
		.amdhsa_user_sgpr_dispatch_ptr 0
		.amdhsa_user_sgpr_queue_ptr 0
		.amdhsa_user_sgpr_kernarg_segment_ptr 1
		.amdhsa_user_sgpr_dispatch_id 0
		.amdhsa_user_sgpr_flat_scratch_init 1
		.amdhsa_user_sgpr_kernarg_preload_length 0
		.amdhsa_user_sgpr_kernarg_preload_offset 0
		.amdhsa_user_sgpr_private_segment_size 0
		.amdhsa_uses_dynamic_stack 0
		.amdhsa_system_sgpr_private_segment_wavefront_offset 0
		.amdhsa_system_sgpr_workgroup_id_x 1
		.amdhsa_system_sgpr_workgroup_id_y 0
		.amdhsa_system_sgpr_workgroup_id_z 0
		.amdhsa_system_sgpr_workgroup_info 0
		.amdhsa_system_vgpr_workitem_id 0
		.amdhsa_next_free_vgpr 33
		.amdhsa_next_free_sgpr 33
		.amdhsa_accum_offset 36
		.amdhsa_reserve_vcc 1
		.amdhsa_reserve_flat_scratch 1
		.amdhsa_float_round_mode_32 0
		.amdhsa_float_round_mode_16_64 0
		.amdhsa_float_denorm_mode_32 3
		.amdhsa_float_denorm_mode_16_64 3
		.amdhsa_dx10_clamp 1
		.amdhsa_ieee_mode 1
		.amdhsa_fp16_overflow 0
		.amdhsa_tg_split 0
		.amdhsa_exception_fp_ieee_invalid_op 0
		.amdhsa_exception_fp_denorm_src 0
		.amdhsa_exception_fp_ieee_div_zero 0
		.amdhsa_exception_fp_ieee_overflow 0
		.amdhsa_exception_fp_ieee_underflow 0
		.amdhsa_exception_fp_ieee_inexact 0
		.amdhsa_exception_int_div_zero 0
	.end_amdhsa_kernel
	.section	.text._ZN2at6native29vectorized_elementwise_kernelILi16EZZZNS0_12_GLOBAL__N_121bessel_j0_kernel_cudaERNS_18TensorIteratorBaseEENKUlvE_clEvENKUlvE0_clEvEUlfE_St5arrayIPcLm2EEEEviT0_T1_,"axG",@progbits,_ZN2at6native29vectorized_elementwise_kernelILi16EZZZNS0_12_GLOBAL__N_121bessel_j0_kernel_cudaERNS_18TensorIteratorBaseEENKUlvE_clEvENKUlvE0_clEvEUlfE_St5arrayIPcLm2EEEEviT0_T1_,comdat
.Lfunc_end14:
	.size	_ZN2at6native29vectorized_elementwise_kernelILi16EZZZNS0_12_GLOBAL__N_121bessel_j0_kernel_cudaERNS_18TensorIteratorBaseEENKUlvE_clEvENKUlvE0_clEvEUlfE_St5arrayIPcLm2EEEEviT0_T1_, .Lfunc_end14-_ZN2at6native29vectorized_elementwise_kernelILi16EZZZNS0_12_GLOBAL__N_121bessel_j0_kernel_cudaERNS_18TensorIteratorBaseEENKUlvE_clEvENKUlvE0_clEvEUlfE_St5arrayIPcLm2EEEEviT0_T1_
                                        ; -- End function
	.section	.AMDGPU.csdata,"",@progbits
; Kernel info:
; codeLenInByte = 180
; NumSgprs: 39
; NumVgprs: 33
; NumAgprs: 0
; TotalNumVgprs: 33
; ScratchSize: 0
; MemoryBound: 0
; FloatMode: 240
; IeeeMode: 1
; LDSByteSize: 0 bytes/workgroup (compile time only)
; SGPRBlocks: 4
; VGPRBlocks: 4
; NumSGPRsForWavesPerEU: 39
; NumVGPRsForWavesPerEU: 33
; AccumOffset: 36
; Occupancy: 8
; WaveLimiterHint : 0
; COMPUTE_PGM_RSRC2:SCRATCH_EN: 0
; COMPUTE_PGM_RSRC2:USER_SGPR: 8
; COMPUTE_PGM_RSRC2:TRAP_HANDLER: 0
; COMPUTE_PGM_RSRC2:TGID_X_EN: 1
; COMPUTE_PGM_RSRC2:TGID_Y_EN: 0
; COMPUTE_PGM_RSRC2:TGID_Z_EN: 0
; COMPUTE_PGM_RSRC2:TIDIG_COMP_CNT: 0
; COMPUTE_PGM_RSRC3_GFX90A:ACCUM_OFFSET: 8
; COMPUTE_PGM_RSRC3_GFX90A:TG_SPLIT: 0
	.section	.text._ZN2at6native29vectorized_elementwise_kernelILi8EZZZNS0_12_GLOBAL__N_121bessel_j0_kernel_cudaERNS_18TensorIteratorBaseEENKUlvE_clEvENKUlvE0_clEvEUlfE_St5arrayIPcLm2EEEEviT0_T1_,"axG",@progbits,_ZN2at6native29vectorized_elementwise_kernelILi8EZZZNS0_12_GLOBAL__N_121bessel_j0_kernel_cudaERNS_18TensorIteratorBaseEENKUlvE_clEvENKUlvE0_clEvEUlfE_St5arrayIPcLm2EEEEviT0_T1_,comdat
	.globl	_ZN2at6native29vectorized_elementwise_kernelILi8EZZZNS0_12_GLOBAL__N_121bessel_j0_kernel_cudaERNS_18TensorIteratorBaseEENKUlvE_clEvENKUlvE0_clEvEUlfE_St5arrayIPcLm2EEEEviT0_T1_ ; -- Begin function _ZN2at6native29vectorized_elementwise_kernelILi8EZZZNS0_12_GLOBAL__N_121bessel_j0_kernel_cudaERNS_18TensorIteratorBaseEENKUlvE_clEvENKUlvE0_clEvEUlfE_St5arrayIPcLm2EEEEviT0_T1_
	.p2align	8
	.type	_ZN2at6native29vectorized_elementwise_kernelILi8EZZZNS0_12_GLOBAL__N_121bessel_j0_kernel_cudaERNS_18TensorIteratorBaseEENKUlvE_clEvENKUlvE0_clEvEUlfE_St5arrayIPcLm2EEEEviT0_T1_,@function
_ZN2at6native29vectorized_elementwise_kernelILi8EZZZNS0_12_GLOBAL__N_121bessel_j0_kernel_cudaERNS_18TensorIteratorBaseEENKUlvE_clEvENKUlvE0_clEvEUlfE_St5arrayIPcLm2EEEEviT0_T1_: ; @_ZN2at6native29vectorized_elementwise_kernelILi8EZZZNS0_12_GLOBAL__N_121bessel_j0_kernel_cudaERNS_18TensorIteratorBaseEENKUlvE_clEvENKUlvE0_clEvEUlfE_St5arrayIPcLm2EEEEviT0_T1_
; %bb.0:
	s_add_u32 flat_scratch_lo, s6, s9
	s_load_dword s6, s[4:5], 0x0
	s_load_dwordx4 s[20:23], s[4:5], 0x8
	s_addc_u32 flat_scratch_hi, s7, 0
	s_add_u32 s0, s0, s9
	s_addc_u32 s1, s1, 0
	s_lshl_b32 s4, s8, 10
	s_waitcnt lgkmcnt(0)
	s_sub_i32 s19, s6, s4
	s_mov_b32 s18, s8
	v_mov_b32_e32 v31, v0
	s_cmpk_gt_i32 s19, 0x3ff
	s_mov_b64 s[4:5], -1
	s_mov_b32 s32, 0
	s_cbranch_scc1 .LBB15_3
; %bb.1:
	s_andn2_b64 vcc, exec, s[4:5]
	s_cbranch_vccz .LBB15_4
.LBB15_2:
	s_endpgm
.LBB15_3:
	s_mov_b32 s12, s18
	v_mov_b32_e32 v0, s20
	v_mov_b32_e32 v1, s21
	;; [unrolled: 1-line block ×4, first 2 shown]
	s_getpc_b64 s[4:5]
	s_add_u32 s4, s4, _ZN2at6native25elementwise_kernel_helperILb0EZZZNS0_12_GLOBAL__N_121bessel_j0_kernel_cudaERNS_18TensorIteratorBaseEENKUlvE_clEvENKUlvE0_clEvEUlfE_NS0_6memory8policies10vectorizedILi4ESt5arrayIPcLm2EELi4EEEEEvT0_T1_@rel32@lo+4
	s_addc_u32 s5, s5, _ZN2at6native25elementwise_kernel_helperILb0EZZZNS0_12_GLOBAL__N_121bessel_j0_kernel_cudaERNS_18TensorIteratorBaseEENKUlvE_clEvENKUlvE0_clEvEUlfE_NS0_6memory8policies10vectorizedILi4ESt5arrayIPcLm2EELi4EEEEEvT0_T1_@rel32@hi+12
	s_swappc_b64 s[30:31], s[4:5]
	s_cbranch_execnz .LBB15_2
.LBB15_4:
	s_mov_b32 s12, s18
	v_mov_b32_e32 v0, s20
	v_mov_b32_e32 v1, s21
	;; [unrolled: 1-line block ×5, first 2 shown]
	s_getpc_b64 s[4:5]
	s_add_u32 s4, s4, _ZN2at6native25elementwise_kernel_helperILb0EZZZNS0_12_GLOBAL__N_121bessel_j0_kernel_cudaERNS_18TensorIteratorBaseEENKUlvE_clEvENKUlvE0_clEvEUlfE_NS0_6memory8policies11unroll_baseILi256ESt5arrayIPcLm2EE23TrivialOffsetCalculatorILi1EjESF_NS8_15LoadWithoutCastENS8_16StoreWithoutCastELi4ELi1EEEEEvT0_T1_@rel32@lo+4
	s_addc_u32 s5, s5, _ZN2at6native25elementwise_kernel_helperILb0EZZZNS0_12_GLOBAL__N_121bessel_j0_kernel_cudaERNS_18TensorIteratorBaseEENKUlvE_clEvENKUlvE0_clEvEUlfE_NS0_6memory8policies11unroll_baseILi256ESt5arrayIPcLm2EE23TrivialOffsetCalculatorILi1EjESF_NS8_15LoadWithoutCastENS8_16StoreWithoutCastELi4ELi1EEEEEvT0_T1_@rel32@hi+12
	s_swappc_b64 s[30:31], s[4:5]
	s_endpgm
	.section	.rodata,"a",@progbits
	.p2align	6, 0x0
	.amdhsa_kernel _ZN2at6native29vectorized_elementwise_kernelILi8EZZZNS0_12_GLOBAL__N_121bessel_j0_kernel_cudaERNS_18TensorIteratorBaseEENKUlvE_clEvENKUlvE0_clEvEUlfE_St5arrayIPcLm2EEEEviT0_T1_
		.amdhsa_group_segment_fixed_size 0
		.amdhsa_private_segment_fixed_size 0
		.amdhsa_kernarg_size 24
		.amdhsa_user_sgpr_count 8
		.amdhsa_user_sgpr_private_segment_buffer 1
		.amdhsa_user_sgpr_dispatch_ptr 0
		.amdhsa_user_sgpr_queue_ptr 0
		.amdhsa_user_sgpr_kernarg_segment_ptr 1
		.amdhsa_user_sgpr_dispatch_id 0
		.amdhsa_user_sgpr_flat_scratch_init 1
		.amdhsa_user_sgpr_kernarg_preload_length 0
		.amdhsa_user_sgpr_kernarg_preload_offset 0
		.amdhsa_user_sgpr_private_segment_size 0
		.amdhsa_uses_dynamic_stack 0
		.amdhsa_system_sgpr_private_segment_wavefront_offset 0
		.amdhsa_system_sgpr_workgroup_id_x 1
		.amdhsa_system_sgpr_workgroup_id_y 0
		.amdhsa_system_sgpr_workgroup_id_z 0
		.amdhsa_system_sgpr_workgroup_info 0
		.amdhsa_system_vgpr_workitem_id 0
		.amdhsa_next_free_vgpr 33
		.amdhsa_next_free_sgpr 33
		.amdhsa_accum_offset 36
		.amdhsa_reserve_vcc 1
		.amdhsa_reserve_flat_scratch 1
		.amdhsa_float_round_mode_32 0
		.amdhsa_float_round_mode_16_64 0
		.amdhsa_float_denorm_mode_32 3
		.amdhsa_float_denorm_mode_16_64 3
		.amdhsa_dx10_clamp 1
		.amdhsa_ieee_mode 1
		.amdhsa_fp16_overflow 0
		.amdhsa_tg_split 0
		.amdhsa_exception_fp_ieee_invalid_op 0
		.amdhsa_exception_fp_denorm_src 0
		.amdhsa_exception_fp_ieee_div_zero 0
		.amdhsa_exception_fp_ieee_overflow 0
		.amdhsa_exception_fp_ieee_underflow 0
		.amdhsa_exception_fp_ieee_inexact 0
		.amdhsa_exception_int_div_zero 0
	.end_amdhsa_kernel
	.section	.text._ZN2at6native29vectorized_elementwise_kernelILi8EZZZNS0_12_GLOBAL__N_121bessel_j0_kernel_cudaERNS_18TensorIteratorBaseEENKUlvE_clEvENKUlvE0_clEvEUlfE_St5arrayIPcLm2EEEEviT0_T1_,"axG",@progbits,_ZN2at6native29vectorized_elementwise_kernelILi8EZZZNS0_12_GLOBAL__N_121bessel_j0_kernel_cudaERNS_18TensorIteratorBaseEENKUlvE_clEvENKUlvE0_clEvEUlfE_St5arrayIPcLm2EEEEviT0_T1_,comdat
.Lfunc_end15:
	.size	_ZN2at6native29vectorized_elementwise_kernelILi8EZZZNS0_12_GLOBAL__N_121bessel_j0_kernel_cudaERNS_18TensorIteratorBaseEENKUlvE_clEvENKUlvE0_clEvEUlfE_St5arrayIPcLm2EEEEviT0_T1_, .Lfunc_end15-_ZN2at6native29vectorized_elementwise_kernelILi8EZZZNS0_12_GLOBAL__N_121bessel_j0_kernel_cudaERNS_18TensorIteratorBaseEENKUlvE_clEvENKUlvE0_clEvEUlfE_St5arrayIPcLm2EEEEviT0_T1_
                                        ; -- End function
	.section	.AMDGPU.csdata,"",@progbits
; Kernel info:
; codeLenInByte = 180
; NumSgprs: 39
; NumVgprs: 33
; NumAgprs: 0
; TotalNumVgprs: 33
; ScratchSize: 0
; MemoryBound: 0
; FloatMode: 240
; IeeeMode: 1
; LDSByteSize: 0 bytes/workgroup (compile time only)
; SGPRBlocks: 4
; VGPRBlocks: 4
; NumSGPRsForWavesPerEU: 39
; NumVGPRsForWavesPerEU: 33
; AccumOffset: 36
; Occupancy: 8
; WaveLimiterHint : 0
; COMPUTE_PGM_RSRC2:SCRATCH_EN: 0
; COMPUTE_PGM_RSRC2:USER_SGPR: 8
; COMPUTE_PGM_RSRC2:TRAP_HANDLER: 0
; COMPUTE_PGM_RSRC2:TGID_X_EN: 1
; COMPUTE_PGM_RSRC2:TGID_Y_EN: 0
; COMPUTE_PGM_RSRC2:TGID_Z_EN: 0
; COMPUTE_PGM_RSRC2:TIDIG_COMP_CNT: 0
; COMPUTE_PGM_RSRC3_GFX90A:ACCUM_OFFSET: 8
; COMPUTE_PGM_RSRC3_GFX90A:TG_SPLIT: 0
	.section	.text._ZN2at6native29vectorized_elementwise_kernelILi4EZZZNS0_12_GLOBAL__N_121bessel_j0_kernel_cudaERNS_18TensorIteratorBaseEENKUlvE_clEvENKUlvE0_clEvEUlfE_St5arrayIPcLm2EEEEviT0_T1_,"axG",@progbits,_ZN2at6native29vectorized_elementwise_kernelILi4EZZZNS0_12_GLOBAL__N_121bessel_j0_kernel_cudaERNS_18TensorIteratorBaseEENKUlvE_clEvENKUlvE0_clEvEUlfE_St5arrayIPcLm2EEEEviT0_T1_,comdat
	.globl	_ZN2at6native29vectorized_elementwise_kernelILi4EZZZNS0_12_GLOBAL__N_121bessel_j0_kernel_cudaERNS_18TensorIteratorBaseEENKUlvE_clEvENKUlvE0_clEvEUlfE_St5arrayIPcLm2EEEEviT0_T1_ ; -- Begin function _ZN2at6native29vectorized_elementwise_kernelILi4EZZZNS0_12_GLOBAL__N_121bessel_j0_kernel_cudaERNS_18TensorIteratorBaseEENKUlvE_clEvENKUlvE0_clEvEUlfE_St5arrayIPcLm2EEEEviT0_T1_
	.p2align	8
	.type	_ZN2at6native29vectorized_elementwise_kernelILi4EZZZNS0_12_GLOBAL__N_121bessel_j0_kernel_cudaERNS_18TensorIteratorBaseEENKUlvE_clEvENKUlvE0_clEvEUlfE_St5arrayIPcLm2EEEEviT0_T1_,@function
_ZN2at6native29vectorized_elementwise_kernelILi4EZZZNS0_12_GLOBAL__N_121bessel_j0_kernel_cudaERNS_18TensorIteratorBaseEENKUlvE_clEvENKUlvE0_clEvEUlfE_St5arrayIPcLm2EEEEviT0_T1_: ; @_ZN2at6native29vectorized_elementwise_kernelILi4EZZZNS0_12_GLOBAL__N_121bessel_j0_kernel_cudaERNS_18TensorIteratorBaseEENKUlvE_clEvENKUlvE0_clEvEUlfE_St5arrayIPcLm2EEEEviT0_T1_
; %bb.0:
	s_add_u32 flat_scratch_lo, s6, s9
	s_load_dword s6, s[4:5], 0x0
	s_load_dwordx4 s[20:23], s[4:5], 0x8
	s_addc_u32 flat_scratch_hi, s7, 0
	s_add_u32 s0, s0, s9
	s_addc_u32 s1, s1, 0
	s_lshl_b32 s4, s8, 10
	s_waitcnt lgkmcnt(0)
	s_sub_i32 s19, s6, s4
	s_mov_b32 s18, s8
	v_mov_b32_e32 v31, v0
	s_cmpk_gt_i32 s19, 0x3ff
	s_mov_b64 s[4:5], -1
	s_mov_b32 s32, 0
	s_cbranch_scc1 .LBB16_3
; %bb.1:
	s_andn2_b64 vcc, exec, s[4:5]
	s_cbranch_vccz .LBB16_4
.LBB16_2:
	s_endpgm
.LBB16_3:
	s_mov_b32 s12, s18
	v_mov_b32_e32 v0, s20
	v_mov_b32_e32 v1, s21
	;; [unrolled: 1-line block ×4, first 2 shown]
	s_getpc_b64 s[4:5]
	s_add_u32 s4, s4, _ZN2at6native25elementwise_kernel_helperILb0EZZZNS0_12_GLOBAL__N_121bessel_j0_kernel_cudaERNS_18TensorIteratorBaseEENKUlvE_clEvENKUlvE0_clEvEUlfE_NS0_6memory8policies10vectorizedILi4ESt5arrayIPcLm2EELi4EEEEEvT0_T1_@rel32@lo+4
	s_addc_u32 s5, s5, _ZN2at6native25elementwise_kernel_helperILb0EZZZNS0_12_GLOBAL__N_121bessel_j0_kernel_cudaERNS_18TensorIteratorBaseEENKUlvE_clEvENKUlvE0_clEvEUlfE_NS0_6memory8policies10vectorizedILi4ESt5arrayIPcLm2EELi4EEEEEvT0_T1_@rel32@hi+12
	s_swappc_b64 s[30:31], s[4:5]
	s_cbranch_execnz .LBB16_2
.LBB16_4:
	s_mov_b32 s12, s18
	v_mov_b32_e32 v0, s20
	v_mov_b32_e32 v1, s21
	;; [unrolled: 1-line block ×5, first 2 shown]
	s_getpc_b64 s[4:5]
	s_add_u32 s4, s4, _ZN2at6native25elementwise_kernel_helperILb0EZZZNS0_12_GLOBAL__N_121bessel_j0_kernel_cudaERNS_18TensorIteratorBaseEENKUlvE_clEvENKUlvE0_clEvEUlfE_NS0_6memory8policies11unroll_baseILi256ESt5arrayIPcLm2EE23TrivialOffsetCalculatorILi1EjESF_NS8_15LoadWithoutCastENS8_16StoreWithoutCastELi4ELi1EEEEEvT0_T1_@rel32@lo+4
	s_addc_u32 s5, s5, _ZN2at6native25elementwise_kernel_helperILb0EZZZNS0_12_GLOBAL__N_121bessel_j0_kernel_cudaERNS_18TensorIteratorBaseEENKUlvE_clEvENKUlvE0_clEvEUlfE_NS0_6memory8policies11unroll_baseILi256ESt5arrayIPcLm2EE23TrivialOffsetCalculatorILi1EjESF_NS8_15LoadWithoutCastENS8_16StoreWithoutCastELi4ELi1EEEEEvT0_T1_@rel32@hi+12
	s_swappc_b64 s[30:31], s[4:5]
	s_endpgm
	.section	.rodata,"a",@progbits
	.p2align	6, 0x0
	.amdhsa_kernel _ZN2at6native29vectorized_elementwise_kernelILi4EZZZNS0_12_GLOBAL__N_121bessel_j0_kernel_cudaERNS_18TensorIteratorBaseEENKUlvE_clEvENKUlvE0_clEvEUlfE_St5arrayIPcLm2EEEEviT0_T1_
		.amdhsa_group_segment_fixed_size 0
		.amdhsa_private_segment_fixed_size 0
		.amdhsa_kernarg_size 24
		.amdhsa_user_sgpr_count 8
		.amdhsa_user_sgpr_private_segment_buffer 1
		.amdhsa_user_sgpr_dispatch_ptr 0
		.amdhsa_user_sgpr_queue_ptr 0
		.amdhsa_user_sgpr_kernarg_segment_ptr 1
		.amdhsa_user_sgpr_dispatch_id 0
		.amdhsa_user_sgpr_flat_scratch_init 1
		.amdhsa_user_sgpr_kernarg_preload_length 0
		.amdhsa_user_sgpr_kernarg_preload_offset 0
		.amdhsa_user_sgpr_private_segment_size 0
		.amdhsa_uses_dynamic_stack 0
		.amdhsa_system_sgpr_private_segment_wavefront_offset 0
		.amdhsa_system_sgpr_workgroup_id_x 1
		.amdhsa_system_sgpr_workgroup_id_y 0
		.amdhsa_system_sgpr_workgroup_id_z 0
		.amdhsa_system_sgpr_workgroup_info 0
		.amdhsa_system_vgpr_workitem_id 0
		.amdhsa_next_free_vgpr 33
		.amdhsa_next_free_sgpr 33
		.amdhsa_accum_offset 36
		.amdhsa_reserve_vcc 1
		.amdhsa_reserve_flat_scratch 1
		.amdhsa_float_round_mode_32 0
		.amdhsa_float_round_mode_16_64 0
		.amdhsa_float_denorm_mode_32 3
		.amdhsa_float_denorm_mode_16_64 3
		.amdhsa_dx10_clamp 1
		.amdhsa_ieee_mode 1
		.amdhsa_fp16_overflow 0
		.amdhsa_tg_split 0
		.amdhsa_exception_fp_ieee_invalid_op 0
		.amdhsa_exception_fp_denorm_src 0
		.amdhsa_exception_fp_ieee_div_zero 0
		.amdhsa_exception_fp_ieee_overflow 0
		.amdhsa_exception_fp_ieee_underflow 0
		.amdhsa_exception_fp_ieee_inexact 0
		.amdhsa_exception_int_div_zero 0
	.end_amdhsa_kernel
	.section	.text._ZN2at6native29vectorized_elementwise_kernelILi4EZZZNS0_12_GLOBAL__N_121bessel_j0_kernel_cudaERNS_18TensorIteratorBaseEENKUlvE_clEvENKUlvE0_clEvEUlfE_St5arrayIPcLm2EEEEviT0_T1_,"axG",@progbits,_ZN2at6native29vectorized_elementwise_kernelILi4EZZZNS0_12_GLOBAL__N_121bessel_j0_kernel_cudaERNS_18TensorIteratorBaseEENKUlvE_clEvENKUlvE0_clEvEUlfE_St5arrayIPcLm2EEEEviT0_T1_,comdat
.Lfunc_end16:
	.size	_ZN2at6native29vectorized_elementwise_kernelILi4EZZZNS0_12_GLOBAL__N_121bessel_j0_kernel_cudaERNS_18TensorIteratorBaseEENKUlvE_clEvENKUlvE0_clEvEUlfE_St5arrayIPcLm2EEEEviT0_T1_, .Lfunc_end16-_ZN2at6native29vectorized_elementwise_kernelILi4EZZZNS0_12_GLOBAL__N_121bessel_j0_kernel_cudaERNS_18TensorIteratorBaseEENKUlvE_clEvENKUlvE0_clEvEUlfE_St5arrayIPcLm2EEEEviT0_T1_
                                        ; -- End function
	.section	.AMDGPU.csdata,"",@progbits
; Kernel info:
; codeLenInByte = 180
; NumSgprs: 39
; NumVgprs: 33
; NumAgprs: 0
; TotalNumVgprs: 33
; ScratchSize: 0
; MemoryBound: 0
; FloatMode: 240
; IeeeMode: 1
; LDSByteSize: 0 bytes/workgroup (compile time only)
; SGPRBlocks: 4
; VGPRBlocks: 4
; NumSGPRsForWavesPerEU: 39
; NumVGPRsForWavesPerEU: 33
; AccumOffset: 36
; Occupancy: 8
; WaveLimiterHint : 0
; COMPUTE_PGM_RSRC2:SCRATCH_EN: 0
; COMPUTE_PGM_RSRC2:USER_SGPR: 8
; COMPUTE_PGM_RSRC2:TRAP_HANDLER: 0
; COMPUTE_PGM_RSRC2:TGID_X_EN: 1
; COMPUTE_PGM_RSRC2:TGID_Y_EN: 0
; COMPUTE_PGM_RSRC2:TGID_Z_EN: 0
; COMPUTE_PGM_RSRC2:TIDIG_COMP_CNT: 0
; COMPUTE_PGM_RSRC3_GFX90A:ACCUM_OFFSET: 8
; COMPUTE_PGM_RSRC3_GFX90A:TG_SPLIT: 0
	.section	.text._ZN2at6native29vectorized_elementwise_kernelILi2EZZZNS0_12_GLOBAL__N_121bessel_j0_kernel_cudaERNS_18TensorIteratorBaseEENKUlvE_clEvENKUlvE0_clEvEUlfE_St5arrayIPcLm2EEEEviT0_T1_,"axG",@progbits,_ZN2at6native29vectorized_elementwise_kernelILi2EZZZNS0_12_GLOBAL__N_121bessel_j0_kernel_cudaERNS_18TensorIteratorBaseEENKUlvE_clEvENKUlvE0_clEvEUlfE_St5arrayIPcLm2EEEEviT0_T1_,comdat
	.globl	_ZN2at6native29vectorized_elementwise_kernelILi2EZZZNS0_12_GLOBAL__N_121bessel_j0_kernel_cudaERNS_18TensorIteratorBaseEENKUlvE_clEvENKUlvE0_clEvEUlfE_St5arrayIPcLm2EEEEviT0_T1_ ; -- Begin function _ZN2at6native29vectorized_elementwise_kernelILi2EZZZNS0_12_GLOBAL__N_121bessel_j0_kernel_cudaERNS_18TensorIteratorBaseEENKUlvE_clEvENKUlvE0_clEvEUlfE_St5arrayIPcLm2EEEEviT0_T1_
	.p2align	8
	.type	_ZN2at6native29vectorized_elementwise_kernelILi2EZZZNS0_12_GLOBAL__N_121bessel_j0_kernel_cudaERNS_18TensorIteratorBaseEENKUlvE_clEvENKUlvE0_clEvEUlfE_St5arrayIPcLm2EEEEviT0_T1_,@function
_ZN2at6native29vectorized_elementwise_kernelILi2EZZZNS0_12_GLOBAL__N_121bessel_j0_kernel_cudaERNS_18TensorIteratorBaseEENKUlvE_clEvENKUlvE0_clEvEUlfE_St5arrayIPcLm2EEEEviT0_T1_: ; @_ZN2at6native29vectorized_elementwise_kernelILi2EZZZNS0_12_GLOBAL__N_121bessel_j0_kernel_cudaERNS_18TensorIteratorBaseEENKUlvE_clEvENKUlvE0_clEvEUlfE_St5arrayIPcLm2EEEEviT0_T1_
; %bb.0:
	s_add_u32 flat_scratch_lo, s6, s9
	s_load_dword s6, s[4:5], 0x0
	s_load_dwordx4 s[16:19], s[4:5], 0x8
	s_addc_u32 flat_scratch_hi, s7, 0
	s_add_u32 s0, s0, s9
	s_addc_u32 s1, s1, 0
	s_lshl_b32 s4, s8, 10
	s_waitcnt lgkmcnt(0)
	s_sub_i32 s9, s6, s4
	s_cmpk_gt_i32 s9, 0x3ff
	s_mov_b64 s[6:7], -1
	s_mov_b32 s32, 0
	s_cbranch_scc0 .LBB17_10
; %bb.1:
	s_ashr_i32 s5, s4, 31
	s_lshl_b64 s[12:13], s[4:5], 2
	s_add_u32 s4, s18, s12
	s_addc_u32 s5, s19, s13
	v_lshlrev_b32_e32 v1, 3, v0
	global_load_dwordx2 v[2:3], v1, s[4:5]
	global_load_dwordx2 v[4:5], v1, s[4:5] offset:2048
	s_mov_b32 s4, 0x40a00000
	s_waitcnt vmcnt(1)
	v_cmp_gt_f32_e32 vcc, 0, v2
	v_cndmask_b32_e64 v7, v2, -v2, vcc
	v_cmp_ge_f32_e32 vcc, s4, v7
	v_mul_f32_e32 v6, v7, v7
                                        ; implicit-def: $vgpr2
	s_and_saveexec_b64 s[4:5], vcc
	s_xor_b64 s[4:5], exec, s[4:5]
	s_cbranch_execz .LBB17_7
; %bb.2:
	s_mov_b32 s6, 0x3727c5ac
	v_cmp_ngt_f32_e32 vcc, s6, v7
                                        ; implicit-def: $vgpr2
	s_and_saveexec_b64 s[6:7], vcc
	s_xor_b64 s[6:7], exec, s[6:7]
	s_cbranch_execz .LBB17_4
; %bb.3:
	v_mov_b32_e32 v2, 0x43f9c815
	v_fmac_f32_e32 v2, 0, v6
	v_mov_b32_e32 v7, 0x4829b65a
	v_fmac_f32_e32 v7, v6, v2
	;; [unrolled: 2-line block ×4, first 2 shown]
	s_mov_b32 s10, 0xcf8ee29d
	v_mul_f32_e32 v8, 0, v6
	v_mul_f32_e32 v9, v6, v7
	s_mov_b32 s11, 0x53f5f59c
	v_pk_add_f32 v[8:9], v[8:9], s[10:11]
	s_mov_b32 s10, 0x53e3ba8e
	s_mov_b32 s11, 0x578d3514
	v_pk_fma_f32 v[8:9], v[6:7], v[8:9], s[10:11] op_sel_hi:[0,1,1]
	s_mov_b32 s10, 0xd762b0a7
	s_mov_b32 s11, 0x5ae20a0c
	v_pk_fma_f32 v[8:9], v[6:7], v[8:9], s[10:11] op_sel_hi:[0,1,1]
	;; [unrolled: 3-line block ×3, first 2 shown]
	s_mov_b32 s10, 0xc0b90fdc
	s_mov_b32 s11, 0xc1f3c525
	v_pk_add_f32 v[6:7], v[6:7], s[10:11] op_sel_hi:[0,1]
	v_mul_f32_e32 v2, v6, v7
	v_mul_f32_e32 v2, v2, v8
	v_div_scale_f32 v6, s[10:11], v9, v9, v2
	v_rcp_f32_e32 v7, v6
	v_fma_f32 v8, -v6, v7, 1.0
	v_fmac_f32_e32 v7, v8, v7
	v_div_scale_f32 v8, vcc, v2, v9, v2
	v_mul_f32_e32 v10, v8, v7
	v_fma_f32 v11, -v6, v10, v8
	v_fmac_f32_e32 v10, v11, v7
	v_fma_f32 v6, -v6, v10, v8
	v_div_fmas_f32 v6, v6, v7, v10
	v_div_fixup_f32 v2, v6, v9, v2
                                        ; implicit-def: $vgpr6
.LBB17_4:
	s_andn2_saveexec_b64 s[6:7], s[6:7]
; %bb.5:
	s_mov_b32 s10, 0xbe800000
	v_fma_f32 v2, v6, s10, 1.0
; %bb.6:
	s_or_b64 exec, exec, s[6:7]
                                        ; implicit-def: $vgpr6
                                        ; implicit-def: $vgpr7
.LBB17_7:
	s_andn2_saveexec_b64 s[14:15], s[4:5]
	s_cbranch_execz .LBB17_19
; %bb.8:
	v_add_f32_e32 v2, 0xbf490fdb, v7
	v_and_b32_e32 v8, 0x7fffffff, v2
	s_brev_b32 s4, 18
	v_cmp_nlt_f32_e64 s[20:21], |v2|, s4
	v_lshrrev_b32_e32 v13, 23, v8
                                        ; implicit-def: $vgpr9
                                        ; implicit-def: $vgpr10
	s_and_saveexec_b64 s[4:5], s[20:21]
	s_xor_b64 s[22:23], exec, s[4:5]
	s_cbranch_execz .LBB17_12
; %bb.9:
	v_add_u32_e32 v9, 0xffffff88, v13
	v_not_b32_e32 v10, 63
	v_cmp_lt_u32_e32 vcc, 63, v9
	v_cndmask_b32_e32 v10, 0, v10, vcc
	v_add_u32_e32 v9, v10, v9
	v_not_b32_e32 v10, 31
	v_cmp_lt_u32_e64 s[4:5], 31, v9
	v_cndmask_b32_e64 v12, 0, v10, s[4:5]
	v_add_u32_e32 v9, v12, v9
	v_cmp_lt_u32_e64 s[6:7], 31, v9
	v_cndmask_b32_e64 v10, 0, v10, s[6:7]
	v_add_u32_e32 v9, v10, v9
	v_and_b32_e32 v10, 0x7fffff, v8
	v_or_b32_e32 v12, 0x800000, v10
	s_mov_b32 s10, 0xfe5163ab
	v_mad_u64_u32 v[14:15], s[10:11], v12, s10, 0
	v_mov_b32_e32 v11, 0
	v_mov_b32_e32 v10, v15
	s_mov_b32 s10, 0x3c439041
	v_mad_u64_u32 v[16:17], s[10:11], v12, s10, v[10:11]
	v_mov_b32_e32 v10, v17
	s_mov_b32 s10, 0xdb629599
	v_mad_u64_u32 v[18:19], s[10:11], v12, s10, v[10:11]
	;; [unrolled: 3-line block ×6, first 2 shown]
	v_cndmask_b32_e32 v15, v24, v20, vcc
	v_cndmask_b32_e32 v10, v10, v22, vcc
	;; [unrolled: 1-line block ×3, first 2 shown]
	v_cndmask_b32_e64 v12, v10, v15, s[4:5]
	v_cndmask_b32_e64 v10, v11, v10, s[4:5]
	v_cndmask_b32_e32 v11, v22, v18, vcc
	v_cndmask_b32_e64 v15, v15, v11, s[4:5]
	v_cndmask_b32_e64 v10, v10, v12, s[6:7]
	;; [unrolled: 1-line block ×3, first 2 shown]
	v_sub_u32_e32 v17, 32, v9
	v_alignbit_b32 v19, v10, v12, v17
	v_cmp_eq_u32_e64 s[10:11], 0, v9
	v_cndmask_b32_e64 v9, v19, v10, s[10:11]
	v_cndmask_b32_e32 v10, v20, v16, vcc
	v_cndmask_b32_e64 v11, v11, v10, s[4:5]
	v_cndmask_b32_e64 v15, v15, v11, s[6:7]
	v_alignbit_b32 v16, v12, v15, v17
	v_cndmask_b32_e64 v12, v16, v12, s[10:11]
	v_bfe_u32 v20, v9, 29, 1
	v_cndmask_b32_e32 v14, v18, v14, vcc
	v_alignbit_b32 v16, v9, v12, 30
	v_sub_u32_e32 v21, 0, v20
	v_cndmask_b32_e64 v10, v10, v14, s[4:5]
	v_xor_b32_e32 v22, v16, v21
	v_cndmask_b32_e64 v10, v11, v10, s[6:7]
	v_alignbit_b32 v11, v15, v10, v17
	v_ffbh_u32_e32 v14, v22
	v_cndmask_b32_e64 v11, v11, v15, s[10:11]
	v_add_u32_e32 v14, 1, v14
	v_cmp_ne_u32_e32 vcc, v16, v21
	v_alignbit_b32 v12, v12, v11, 30
	v_cndmask_b32_e32 v14, 33, v14, vcc
	v_alignbit_b32 v10, v11, v10, 30
	v_xor_b32_e32 v12, v12, v21
	v_sub_u32_e32 v15, 32, v14
	v_xor_b32_e32 v10, v10, v21
	v_alignbit_b32 v16, v22, v12, v15
	v_alignbit_b32 v10, v12, v10, v15
	;; [unrolled: 1-line block ×3, first 2 shown]
	v_ffbh_u32_e32 v12, v11
	v_min_u32_e32 v12, 32, v12
	v_lshrrev_b32_e32 v19, 29, v9
	v_sub_u32_e32 v15, 31, v12
	v_alignbit_b32 v10, v11, v10, v15
	v_lshlrev_b32_e32 v11, 31, v19
	v_or_b32_e32 v15, 0x33800000, v11
	v_add_lshl_u32 v12, v12, v14, 23
	v_lshrrev_b32_e32 v10, 9, v10
	v_sub_u32_e32 v12, v15, v12
	v_or_b32_e32 v10, v12, v10
	v_alignbit_b32 v12, v14, v16, 9
	v_or_b32_e32 v11, v12, v11
	v_xor_b32_e32 v11, 1.0, v11
	s_mov_b32 s4, 0x3fc90fda
	v_mul_f32_e32 v12, 0x3fc90fda, v11
	v_fma_f32 v14, v11, s4, -v12
	v_fmac_f32_e32 v14, 0x33a22168, v11
	v_fmac_f32_e32 v14, 0x3fc90fda, v10
	v_lshrrev_b32_e32 v9, 30, v9
	v_add_f32_e32 v10, v12, v14
	v_add_u32_e32 v9, v20, v9
	s_andn2_saveexec_b64 s[4:5], s[22:23]
	s_branch .LBB17_13
.LBB17_10:
	s_and_b64 vcc, exec, s[6:7]
	s_cbranch_vccz .LBB17_68
; %bb.11:
	s_mov_b32 s12, s8
	v_mov_b32_e32 v31, v0
	v_mov_b32_e32 v0, s16
	;; [unrolled: 1-line block ×6, first 2 shown]
	s_getpc_b64 s[4:5]
	s_add_u32 s4, s4, _ZN2at6native25elementwise_kernel_helperILb0EZZZNS0_12_GLOBAL__N_121bessel_j0_kernel_cudaERNS_18TensorIteratorBaseEENKUlvE_clEvENKUlvE0_clEvEUlfE_NS0_6memory8policies11unroll_baseILi256ESt5arrayIPcLm2EE23TrivialOffsetCalculatorILi1EjESF_NS8_15LoadWithoutCastENS8_16StoreWithoutCastELi4ELi1EEEEEvT0_T1_@rel32@lo+4
	s_addc_u32 s5, s5, _ZN2at6native25elementwise_kernel_helperILb0EZZZNS0_12_GLOBAL__N_121bessel_j0_kernel_cudaERNS_18TensorIteratorBaseEENKUlvE_clEvENKUlvE0_clEvEUlfE_NS0_6memory8policies11unroll_baseILi256ESt5arrayIPcLm2EE23TrivialOffsetCalculatorILi1EjESF_NS8_15LoadWithoutCastENS8_16StoreWithoutCastELi4ELi1EEEEEvT0_T1_@rel32@hi+12
	s_swappc_b64 s[30:31], s[4:5]
	s_endpgm
.LBB17_12:
	s_andn2_saveexec_b64 s[4:5], s[22:23]
.LBB17_13:
	s_mov_b32 s6, 0x3f22f983
	v_mul_f32_e64 v9, |v2|, s6
	v_rndne_f32_e32 v11, v9
	s_mov_b32 s6, 0xbfc90fda
	v_cvt_i32_f32_e32 v9, v11
	v_fma_f32 v10, v11, s6, |v2|
	v_fmac_f32_e32 v10, 0xb3a22168, v11
	v_fmac_f32_e32 v10, 0xa7c234c4, v11
; %bb.14:
	s_or_b64 exec, exec, s[4:5]
                                        ; implicit-def: $vgpr11
                                        ; implicit-def: $vgpr12
	s_and_saveexec_b64 s[4:5], s[20:21]
	s_xor_b64 s[20:21], exec, s[4:5]
	s_cbranch_execz .LBB17_16
; %bb.15:
	v_add_u32_e32 v11, 0xffffff88, v13
	v_not_b32_e32 v12, 63
	v_cmp_lt_u32_e32 vcc, 63, v11
	v_cndmask_b32_e32 v12, 0, v12, vcc
	v_add_u32_e32 v11, v12, v11
	v_not_b32_e32 v12, 31
	v_cmp_lt_u32_e64 s[4:5], 31, v11
	v_cndmask_b32_e64 v14, 0, v12, s[4:5]
	v_add_u32_e32 v11, v14, v11
	v_cmp_lt_u32_e64 s[6:7], 31, v11
	v_cndmask_b32_e64 v12, 0, v12, s[6:7]
	v_add_u32_e32 v11, v12, v11
	v_and_b32_e32 v12, 0x7fffff, v8
	v_or_b32_e32 v26, 0x800000, v12
	s_mov_b32 s10, 0xfe5163ab
	v_mad_u64_u32 v[14:15], s[10:11], v26, s10, 0
	v_mov_b32_e32 v13, 0
	v_mov_b32_e32 v12, v15
	s_mov_b32 s10, 0x3c439041
	v_mad_u64_u32 v[16:17], s[10:11], v26, s10, v[12:13]
	v_mov_b32_e32 v12, v17
	s_mov_b32 s10, 0xdb629599
	v_mad_u64_u32 v[18:19], s[10:11], v26, s10, v[12:13]
	;; [unrolled: 3-line block ×6, first 2 shown]
	v_cndmask_b32_e32 v15, v24, v20, vcc
	v_cndmask_b32_e32 v12, v12, v22, vcc
	;; [unrolled: 1-line block ×3, first 2 shown]
	v_cndmask_b32_e64 v17, v12, v15, s[4:5]
	v_cndmask_b32_e64 v12, v13, v12, s[4:5]
	v_cndmask_b32_e32 v13, v22, v18, vcc
	v_cndmask_b32_e64 v15, v15, v13, s[4:5]
	v_cndmask_b32_e64 v12, v12, v17, s[6:7]
	;; [unrolled: 1-line block ×3, first 2 shown]
	v_sub_u32_e32 v19, 32, v11
	v_alignbit_b32 v21, v12, v17, v19
	v_cmp_eq_u32_e64 s[10:11], 0, v11
	v_cndmask_b32_e64 v11, v21, v12, s[10:11]
	v_cndmask_b32_e32 v12, v20, v16, vcc
	v_cndmask_b32_e64 v13, v13, v12, s[4:5]
	v_cndmask_b32_e64 v15, v15, v13, s[6:7]
	v_alignbit_b32 v16, v17, v15, v19
	v_cndmask_b32_e32 v14, v18, v14, vcc
	v_cndmask_b32_e64 v16, v16, v17, s[10:11]
	v_bfe_u32 v21, v11, 29, 1
	v_cndmask_b32_e64 v12, v12, v14, s[4:5]
	v_alignbit_b32 v17, v11, v16, 30
	v_sub_u32_e32 v22, 0, v21
	v_cndmask_b32_e64 v12, v13, v12, s[6:7]
	v_xor_b32_e32 v23, v17, v22
	v_alignbit_b32 v13, v15, v12, v19
	v_cndmask_b32_e64 v13, v13, v15, s[10:11]
	v_ffbh_u32_e32 v15, v23
	v_add_u32_e32 v15, 1, v15
	v_cmp_ne_u32_e32 vcc, v17, v22
	v_alignbit_b32 v14, v16, v13, 30
	v_cndmask_b32_e32 v15, 33, v15, vcc
	v_alignbit_b32 v12, v13, v12, 30
	v_xor_b32_e32 v14, v14, v22
	v_sub_u32_e32 v16, 32, v15
	v_xor_b32_e32 v12, v12, v22
	v_alignbit_b32 v17, v23, v14, v16
	v_alignbit_b32 v12, v14, v12, v16
	;; [unrolled: 1-line block ×3, first 2 shown]
	v_ffbh_u32_e32 v14, v13
	v_min_u32_e32 v14, 32, v14
	v_lshrrev_b32_e32 v20, 29, v11
	v_sub_u32_e32 v16, 31, v14
	v_alignbit_b32 v12, v13, v12, v16
	v_lshlrev_b32_e32 v13, 31, v20
	v_or_b32_e32 v16, 0x33800000, v13
	v_add_lshl_u32 v14, v14, v15, 23
	v_lshrrev_b32_e32 v12, 9, v12
	v_sub_u32_e32 v14, v16, v14
	v_or_b32_e32 v12, v14, v12
	v_alignbit_b32 v14, v15, v17, 9
	v_or_b32_e32 v13, v14, v13
	v_xor_b32_e32 v13, 1.0, v13
	s_mov_b32 s4, 0x3fc90fda
	v_mul_f32_e32 v14, 0x3fc90fda, v13
	v_fma_f32 v15, v13, s4, -v14
	v_fmac_f32_e32 v15, 0x33a22168, v13
	v_fmac_f32_e32 v15, 0x3fc90fda, v12
	v_lshrrev_b32_e32 v11, 30, v11
	v_add_f32_e32 v12, v14, v15
	v_add_u32_e32 v11, v21, v11
	s_andn2_saveexec_b64 s[4:5], s[20:21]
	s_cbranch_execnz .LBB17_17
	s_branch .LBB17_18
.LBB17_16:
	s_andn2_saveexec_b64 s[4:5], s[20:21]
.LBB17_17:
	s_mov_b32 s6, 0x3f22f983
	v_mul_f32_e64 v11, |v2|, s6
	v_rndne_f32_e32 v13, v11
	s_mov_b32 s6, 0xbfc90fda
	v_cvt_i32_f32_e32 v11, v13
	v_fma_f32 v12, v13, s6, |v2|
	v_fmac_f32_e32 v12, 0xb3a22168, v13
	v_fmac_f32_e32 v12, 0xa7c234c4, v13
.LBB17_18:
	s_or_b64 exec, exec, s[4:5]
	s_mov_b32 s6, 0x41c80000
	v_div_scale_f32 v13, s[4:5], v6, v6, s6
	v_rcp_f32_e32 v14, v13
	v_div_scale_f32 v15, vcc, s6, v6, s6
	v_mov_b32_e32 v21, 0xbf000004
	v_fma_f32 v16, -v13, v14, 1.0
	v_fmac_f32_e32 v14, v16, v14
	v_mul_f32_e32 v16, v15, v14
	v_fma_f32 v17, -v13, v16, v15
	v_fmac_f32_e32 v16, v17, v14
	v_fma_f32 v13, -v13, v16, v15
	v_div_fmas_f32 v13, v13, v14, v16
	v_div_fixup_f32 v6, v13, v6, s6
	v_mov_b32_e32 v13, 0x3a50e985
	v_fmac_f32_e32 v13, 0, v6
	v_mov_b32_e32 v14, 0x3da9a586
	v_fmac_f32_e32 v14, v6, v13
	;; [unrolled: 2-line block ×12, first 2 shown]
	v_fma_f32 v13, v6, v15, 1.0
	v_mov_b32_e32 v15, 0xbc3a3a12
	v_fmac_f32_e32 v15, 0, v6
	v_mov_b32_e32 v16, 0xbfa429da
	v_fmac_f32_e32 v16, v6, v15
	;; [unrolled: 2-line block ×9, first 2 shown]
	v_mov_b32_e32 v17, 0x44561b86
	v_fma_f32 v14, v6, v14, 1.0
	v_fmac_f32_e32 v17, v6, v15
	v_mov_b32_e32 v15, 0x4572a66e
	v_div_scale_f32 v18, s[4:5], v13, v13, v14
	v_fmac_f32_e32 v15, v6, v17
	v_mov_b32_e32 v17, 0x45e243be
	v_rcp_f32_e32 v19, v18
	v_fmac_f32_e32 v17, v6, v15
	v_mov_b32_e32 v15, 0x45b955d1
	v_fmac_f32_e32 v15, v6, v17
	v_mov_b32_e32 v17, 0x4500e17e
	;; [unrolled: 2-line block ×3, first 2 shown]
	v_fmac_f32_e32 v15, v6, v17
	v_fma_f32 v6, -v18, v19, 1.0
	v_fmac_f32_e32 v19, v6, v19
	v_div_scale_f32 v6, vcc, v14, v13, v14
	v_mul_f32_e32 v17, v6, v19
	v_fma_f32 v20, -v18, v17, v6
	v_fmac_f32_e32 v17, v20, v19
	v_fma_f32 v6, -v18, v17, v6
	v_div_fmas_f32 v6, v6, v19, v17
	v_div_fixup_f32 v6, v6, v13, v14
	v_mul_f32_e32 v13, v10, v10
	v_mov_b32_e32 v19, 0xbab64f3b
	v_mov_b32_e32 v17, 0x3c0881c4
	v_fmac_f32_e32 v19, 0x37d75334, v13
	v_mov_b32_e32 v20, 0x3d2aabf7
	v_fmac_f32_e32 v17, 0xb94c1982, v13
	v_mov_b32_e32 v18, 0xbe2aaa9d
	v_fma_f32 v19, v13, v19, v20
	v_fma_f32 v17, v13, v17, v18
	;; [unrolled: 1-line block ×3, first 2 shown]
	v_mul_f32_e32 v17, v13, v17
	v_fma_f32 v13, v13, v19, 1.0
	v_and_b32_e32 v19, 1, v9
	v_fmac_f32_e32 v10, v10, v17
	v_cmp_eq_u32_e32 vcc, 0, v19
	v_lshlrev_b32_e32 v9, 30, v9
	v_cndmask_b32_e64 v10, -v10, v13, vcc
	v_and_b32_e32 v9, 0x80000000, v9
	s_mov_b32 s10, 0xc0a00000
	v_xor_b32_e32 v9, v9, v10
	v_div_scale_f32 v10, s[4:5], v7, v7, s10
	v_rcp_f32_e32 v13, v10
	s_movk_i32 s6, 0x1f8
	v_cmp_class_f32_e64 s[4:5], v2, s6
	v_mov_b32_e32 v14, 0x3c0881c4
	v_fma_f32 v22, -v10, v13, 1.0
	v_fmac_f32_e32 v13, v22, v13
	v_div_scale_f32 v22, vcc, s10, v7, s10
	v_mul_f32_e32 v23, v22, v13
	v_fma_f32 v24, -v10, v23, v22
	v_fmac_f32_e32 v23, v24, v13
	v_fma_f32 v10, -v10, v23, v22
	v_div_scale_f32 v22, s[6:7], v15, v15, v16
	v_rcp_f32_e32 v24, v22
	v_div_fmas_f32 v10, v10, v13, v23
	v_div_fixup_f32 v10, v10, v7, s10
	v_mov_b32_e32 v17, 0xbab64f3b
	v_fma_f32 v13, -v22, v24, 1.0
	v_fmac_f32_e32 v24, v13, v24
	v_div_scale_f32 v13, vcc, v16, v15, v16
	v_mul_f32_e32 v23, v13, v24
	v_fma_f32 v25, -v22, v23, v13
	v_fmac_f32_e32 v23, v25, v24
	v_fma_f32 v13, -v22, v23, v13
	v_div_fmas_f32 v13, v13, v24, v23
	v_div_fixup_f32 v13, v13, v15, v16
	v_mul_f32_e32 v10, v10, v13
	v_mul_f32_e32 v13, v12, v12
	v_fmac_f32_e32 v14, 0xb94c1982, v13
	v_fmac_f32_e32 v18, v13, v14
	;; [unrolled: 1-line block ×3, first 2 shown]
	v_mul_f32_e32 v14, v13, v18
	v_fmac_f32_e32 v20, v13, v17
	v_fmac_f32_e32 v12, v12, v14
	v_fmac_f32_e32 v21, v13, v20
	v_and_b32_e32 v14, 1, v11
	v_lshlrev_b32_e32 v11, 30, v11
	v_fma_f32 v13, v13, v21, 1.0
	v_cmp_eq_u32_e32 vcc, 0, v14
	v_and_b32_e32 v11, 0x80000000, v11
	v_xor_b32_e32 v2, v8, v2
	v_cndmask_b32_e32 v12, v13, v12, vcc
	v_xor_b32_e32 v2, v2, v11
	v_mov_b32_e32 v19, 0x7fc00000
	v_xor_b32_e32 v2, v2, v12
	v_cndmask_b32_e64 v9, v19, v9, s[4:5]
	v_cndmask_b32_e64 v2, v19, v2, s[4:5]
	s_mov_b32 s4, 0xf800000
	v_mul_f32_e32 v8, 0x4f800000, v7
	v_cmp_gt_f32_e32 vcc, s4, v7
	v_cndmask_b32_e32 v7, v7, v8, vcc
	v_sqrt_f32_e32 v8, v7
	v_mul_f32_e32 v2, v10, v2
	v_fmac_f32_e32 v2, v6, v9
	v_mul_f32_e32 v2, 0x3f4c422a, v2
	v_add_u32_e32 v6, -1, v8
	v_fma_f32 v9, -v6, v8, v7
	v_cmp_ge_f32_e64 s[4:5], 0, v9
	v_add_u32_e32 v9, 1, v8
	v_cndmask_b32_e64 v6, v8, v6, s[4:5]
	v_fma_f32 v8, -v9, v8, v7
	v_cmp_lt_f32_e64 s[4:5], 0, v8
	v_cndmask_b32_e64 v6, v6, v9, s[4:5]
	v_mul_f32_e32 v8, 0x37800000, v6
	v_cndmask_b32_e32 v6, v6, v8, vcc
	v_mov_b32_e32 v8, 0x260
	v_cmp_class_f32_e32 vcc, v7, v8
	v_cndmask_b32_e32 v6, v6, v7, vcc
	v_div_scale_f32 v7, s[4:5], v6, v6, v2
	v_rcp_f32_e32 v8, v7
	v_fma_f32 v9, -v7, v8, 1.0
	v_fmac_f32_e32 v8, v9, v8
	v_div_scale_f32 v9, vcc, v2, v6, v2
	v_mul_f32_e32 v10, v9, v8
	v_fma_f32 v11, -v7, v10, v9
	v_fmac_f32_e32 v10, v11, v8
	v_fma_f32 v7, -v7, v10, v9
	v_div_fmas_f32 v7, v7, v8, v10
	v_div_fixup_f32 v2, v7, v6, v2
.LBB17_19:
	s_or_b64 exec, exec, s[14:15]
	v_cmp_gt_f32_e32 vcc, 0, v3
	v_cndmask_b32_e64 v7, v3, -v3, vcc
	s_mov_b32 s4, 0x40a00000
	v_cmp_ge_f32_e32 vcc, s4, v7
	v_mul_f32_e32 v6, v7, v7
	s_and_saveexec_b64 s[4:5], vcc
	s_xor_b64 s[4:5], exec, s[4:5]
	s_cbranch_execz .LBB17_25
; %bb.20:
	s_mov_b32 s6, 0x3727c5ac
	v_cmp_ngt_f32_e32 vcc, s6, v7
	s_and_saveexec_b64 s[6:7], vcc
	s_xor_b64 s[6:7], exec, s[6:7]
	s_cbranch_execz .LBB17_22
; %bb.21:
	v_mov_b32_e32 v3, 0x43f9c815
	v_fmac_f32_e32 v3, 0, v6
	v_mov_b32_e32 v7, 0x4829b65a
	v_fmac_f32_e32 v7, v6, v3
	;; [unrolled: 2-line block ×4, first 2 shown]
	s_mov_b32 s10, 0xcf8ee29d
	v_mul_f32_e32 v8, 0, v6
	v_mul_f32_e32 v9, v6, v7
	s_mov_b32 s11, 0x53f5f59c
	v_pk_add_f32 v[8:9], v[8:9], s[10:11]
	s_mov_b32 s10, 0x53e3ba8e
	s_mov_b32 s11, 0x578d3514
	v_pk_fma_f32 v[8:9], v[6:7], v[8:9], s[10:11] op_sel_hi:[0,1,1]
	s_mov_b32 s10, 0xd762b0a7
	s_mov_b32 s11, 0x5ae20a0c
	v_pk_fma_f32 v[8:9], v[6:7], v[8:9], s[10:11] op_sel_hi:[0,1,1]
	;; [unrolled: 3-line block ×3, first 2 shown]
	s_mov_b32 s10, 0xc0b90fdc
	s_mov_b32 s11, 0xc1f3c525
	v_pk_add_f32 v[6:7], v[6:7], s[10:11] op_sel_hi:[0,1]
	v_mul_f32_e32 v3, v6, v7
	v_mul_f32_e32 v3, v3, v8
	v_div_scale_f32 v6, s[10:11], v9, v9, v3
	v_rcp_f32_e32 v7, v6
	v_fma_f32 v8, -v6, v7, 1.0
	v_fmac_f32_e32 v7, v8, v7
	v_div_scale_f32 v8, vcc, v3, v9, v3
	v_mul_f32_e32 v10, v8, v7
	v_fma_f32 v11, -v6, v10, v8
	v_fmac_f32_e32 v10, v11, v7
	v_fma_f32 v6, -v6, v10, v8
	v_div_fmas_f32 v6, v6, v7, v10
	v_div_fixup_f32 v3, v6, v9, v3
                                        ; implicit-def: $vgpr6
.LBB17_22:
	s_andn2_saveexec_b64 s[6:7], s[6:7]
; %bb.23:
	s_mov_b32 s10, 0xbe800000
	v_fma_f32 v3, v6, s10, 1.0
; %bb.24:
	s_or_b64 exec, exec, s[6:7]
                                        ; implicit-def: $vgpr6
                                        ; implicit-def: $vgpr7
.LBB17_25:
	s_andn2_saveexec_b64 s[14:15], s[4:5]
	s_cbranch_execz .LBB17_35
; %bb.26:
	v_add_f32_e32 v3, 0xbf490fdb, v7
	v_and_b32_e32 v8, 0x7fffffff, v3
	s_brev_b32 s4, 18
	v_cmp_nlt_f32_e64 s[20:21], |v3|, s4
	v_lshrrev_b32_e32 v13, 23, v8
                                        ; implicit-def: $vgpr9
                                        ; implicit-def: $vgpr10
	s_and_saveexec_b64 s[4:5], s[20:21]
	s_xor_b64 s[22:23], exec, s[4:5]
	s_cbranch_execz .LBB17_28
; %bb.27:
	v_add_u32_e32 v9, 0xffffff88, v13
	v_not_b32_e32 v10, 63
	v_cmp_lt_u32_e32 vcc, 63, v9
	v_cndmask_b32_e32 v10, 0, v10, vcc
	v_add_u32_e32 v9, v10, v9
	v_not_b32_e32 v10, 31
	v_cmp_lt_u32_e64 s[4:5], 31, v9
	v_cndmask_b32_e64 v12, 0, v10, s[4:5]
	v_add_u32_e32 v9, v12, v9
	v_cmp_lt_u32_e64 s[6:7], 31, v9
	v_cndmask_b32_e64 v10, 0, v10, s[6:7]
	v_add_u32_e32 v9, v10, v9
	v_and_b32_e32 v10, 0x7fffff, v8
	v_or_b32_e32 v12, 0x800000, v10
	s_mov_b32 s10, 0xfe5163ab
	v_mad_u64_u32 v[14:15], s[10:11], v12, s10, 0
	v_mov_b32_e32 v11, 0
	v_mov_b32_e32 v10, v15
	s_mov_b32 s10, 0x3c439041
	v_mad_u64_u32 v[16:17], s[10:11], v12, s10, v[10:11]
	v_mov_b32_e32 v10, v17
	s_mov_b32 s10, 0xdb629599
	v_mad_u64_u32 v[18:19], s[10:11], v12, s10, v[10:11]
	v_mov_b32_e32 v10, v19
	s_mov_b32 s10, 0xf534ddc0
	v_mad_u64_u32 v[20:21], s[10:11], v12, s10, v[10:11]
	v_mov_b32_e32 v10, v21
	s_mov_b32 s10, 0xfc2757d1
	v_mad_u64_u32 v[22:23], s[10:11], v12, s10, v[10:11]
	v_mov_b32_e32 v10, v23
	s_mov_b32 s10, 0x4e441529
	v_mad_u64_u32 v[24:25], s[10:11], v12, s10, v[10:11]
	v_mov_b32_e32 v10, v25
	s_mov_b32 s10, 0xa2f9836e
	v_mad_u64_u32 v[10:11], s[10:11], v12, s10, v[10:11]
	v_cndmask_b32_e32 v15, v24, v20, vcc
	v_cndmask_b32_e32 v10, v10, v22, vcc
	;; [unrolled: 1-line block ×3, first 2 shown]
	v_cndmask_b32_e64 v12, v10, v15, s[4:5]
	v_cndmask_b32_e64 v10, v11, v10, s[4:5]
	v_cndmask_b32_e32 v11, v22, v18, vcc
	v_cndmask_b32_e64 v15, v15, v11, s[4:5]
	v_cndmask_b32_e64 v10, v10, v12, s[6:7]
	;; [unrolled: 1-line block ×3, first 2 shown]
	v_sub_u32_e32 v17, 32, v9
	v_alignbit_b32 v19, v10, v12, v17
	v_cmp_eq_u32_e64 s[10:11], 0, v9
	v_cndmask_b32_e64 v9, v19, v10, s[10:11]
	v_cndmask_b32_e32 v10, v20, v16, vcc
	v_cndmask_b32_e64 v11, v11, v10, s[4:5]
	v_cndmask_b32_e64 v15, v15, v11, s[6:7]
	v_alignbit_b32 v16, v12, v15, v17
	v_cndmask_b32_e64 v12, v16, v12, s[10:11]
	v_bfe_u32 v20, v9, 29, 1
	v_cndmask_b32_e32 v14, v18, v14, vcc
	v_alignbit_b32 v16, v9, v12, 30
	v_sub_u32_e32 v21, 0, v20
	v_cndmask_b32_e64 v10, v10, v14, s[4:5]
	v_xor_b32_e32 v22, v16, v21
	v_cndmask_b32_e64 v10, v11, v10, s[6:7]
	v_alignbit_b32 v11, v15, v10, v17
	v_ffbh_u32_e32 v14, v22
	v_cndmask_b32_e64 v11, v11, v15, s[10:11]
	v_add_u32_e32 v14, 1, v14
	v_cmp_ne_u32_e32 vcc, v16, v21
	v_alignbit_b32 v12, v12, v11, 30
	v_cndmask_b32_e32 v14, 33, v14, vcc
	v_alignbit_b32 v10, v11, v10, 30
	v_xor_b32_e32 v12, v12, v21
	v_sub_u32_e32 v15, 32, v14
	v_xor_b32_e32 v10, v10, v21
	v_alignbit_b32 v16, v22, v12, v15
	v_alignbit_b32 v10, v12, v10, v15
	;; [unrolled: 1-line block ×3, first 2 shown]
	v_ffbh_u32_e32 v12, v11
	v_min_u32_e32 v12, 32, v12
	v_lshrrev_b32_e32 v19, 29, v9
	v_sub_u32_e32 v15, 31, v12
	v_alignbit_b32 v10, v11, v10, v15
	v_lshlrev_b32_e32 v11, 31, v19
	v_or_b32_e32 v15, 0x33800000, v11
	v_add_lshl_u32 v12, v12, v14, 23
	v_lshrrev_b32_e32 v10, 9, v10
	v_sub_u32_e32 v12, v15, v12
	v_or_b32_e32 v10, v12, v10
	v_alignbit_b32 v12, v14, v16, 9
	v_or_b32_e32 v11, v12, v11
	v_xor_b32_e32 v11, 1.0, v11
	s_mov_b32 s4, 0x3fc90fda
	v_mul_f32_e32 v12, 0x3fc90fda, v11
	v_fma_f32 v14, v11, s4, -v12
	v_fmac_f32_e32 v14, 0x33a22168, v11
	v_fmac_f32_e32 v14, 0x3fc90fda, v10
	v_lshrrev_b32_e32 v9, 30, v9
	v_add_f32_e32 v10, v12, v14
	v_add_u32_e32 v9, v20, v9
	s_andn2_saveexec_b64 s[4:5], s[22:23]
	s_branch .LBB17_29
.LBB17_28:
	s_andn2_saveexec_b64 s[4:5], s[22:23]
.LBB17_29:
	s_mov_b32 s6, 0x3f22f983
	v_mul_f32_e64 v9, |v3|, s6
	v_rndne_f32_e32 v11, v9
	s_mov_b32 s6, 0xbfc90fda
	v_cvt_i32_f32_e32 v9, v11
	v_fma_f32 v10, v11, s6, |v3|
	v_fmac_f32_e32 v10, 0xb3a22168, v11
	v_fmac_f32_e32 v10, 0xa7c234c4, v11
; %bb.30:
	s_or_b64 exec, exec, s[4:5]
                                        ; implicit-def: $vgpr11
                                        ; implicit-def: $vgpr12
	s_and_saveexec_b64 s[4:5], s[20:21]
	s_xor_b64 s[20:21], exec, s[4:5]
	s_cbranch_execz .LBB17_32
; %bb.31:
	v_add_u32_e32 v11, 0xffffff88, v13
	v_not_b32_e32 v12, 63
	v_cmp_lt_u32_e32 vcc, 63, v11
	v_cndmask_b32_e32 v12, 0, v12, vcc
	v_add_u32_e32 v11, v12, v11
	v_not_b32_e32 v12, 31
	v_cmp_lt_u32_e64 s[4:5], 31, v11
	v_cndmask_b32_e64 v14, 0, v12, s[4:5]
	v_add_u32_e32 v11, v14, v11
	v_cmp_lt_u32_e64 s[6:7], 31, v11
	v_cndmask_b32_e64 v12, 0, v12, s[6:7]
	v_add_u32_e32 v11, v12, v11
	v_and_b32_e32 v12, 0x7fffff, v8
	v_or_b32_e32 v26, 0x800000, v12
	s_mov_b32 s10, 0xfe5163ab
	v_mad_u64_u32 v[14:15], s[10:11], v26, s10, 0
	v_mov_b32_e32 v13, 0
	v_mov_b32_e32 v12, v15
	s_mov_b32 s10, 0x3c439041
	v_mad_u64_u32 v[16:17], s[10:11], v26, s10, v[12:13]
	v_mov_b32_e32 v12, v17
	s_mov_b32 s10, 0xdb629599
	v_mad_u64_u32 v[18:19], s[10:11], v26, s10, v[12:13]
	;; [unrolled: 3-line block ×6, first 2 shown]
	v_cndmask_b32_e32 v15, v24, v20, vcc
	v_cndmask_b32_e32 v12, v12, v22, vcc
	;; [unrolled: 1-line block ×3, first 2 shown]
	v_cndmask_b32_e64 v17, v12, v15, s[4:5]
	v_cndmask_b32_e64 v12, v13, v12, s[4:5]
	v_cndmask_b32_e32 v13, v22, v18, vcc
	v_cndmask_b32_e64 v15, v15, v13, s[4:5]
	v_cndmask_b32_e64 v12, v12, v17, s[6:7]
	;; [unrolled: 1-line block ×3, first 2 shown]
	v_sub_u32_e32 v19, 32, v11
	v_alignbit_b32 v21, v12, v17, v19
	v_cmp_eq_u32_e64 s[10:11], 0, v11
	v_cndmask_b32_e64 v11, v21, v12, s[10:11]
	v_cndmask_b32_e32 v12, v20, v16, vcc
	v_cndmask_b32_e64 v13, v13, v12, s[4:5]
	v_cndmask_b32_e64 v15, v15, v13, s[6:7]
	v_alignbit_b32 v16, v17, v15, v19
	v_cndmask_b32_e32 v14, v18, v14, vcc
	v_cndmask_b32_e64 v16, v16, v17, s[10:11]
	v_bfe_u32 v21, v11, 29, 1
	v_cndmask_b32_e64 v12, v12, v14, s[4:5]
	v_alignbit_b32 v17, v11, v16, 30
	v_sub_u32_e32 v22, 0, v21
	v_cndmask_b32_e64 v12, v13, v12, s[6:7]
	v_xor_b32_e32 v23, v17, v22
	v_alignbit_b32 v13, v15, v12, v19
	v_cndmask_b32_e64 v13, v13, v15, s[10:11]
	v_ffbh_u32_e32 v15, v23
	v_add_u32_e32 v15, 1, v15
	v_cmp_ne_u32_e32 vcc, v17, v22
	v_alignbit_b32 v14, v16, v13, 30
	v_cndmask_b32_e32 v15, 33, v15, vcc
	v_alignbit_b32 v12, v13, v12, 30
	v_xor_b32_e32 v14, v14, v22
	v_sub_u32_e32 v16, 32, v15
	v_xor_b32_e32 v12, v12, v22
	v_alignbit_b32 v17, v23, v14, v16
	v_alignbit_b32 v12, v14, v12, v16
	;; [unrolled: 1-line block ×3, first 2 shown]
	v_ffbh_u32_e32 v14, v13
	v_min_u32_e32 v14, 32, v14
	v_lshrrev_b32_e32 v20, 29, v11
	v_sub_u32_e32 v16, 31, v14
	v_alignbit_b32 v12, v13, v12, v16
	v_lshlrev_b32_e32 v13, 31, v20
	v_or_b32_e32 v16, 0x33800000, v13
	v_add_lshl_u32 v14, v14, v15, 23
	v_lshrrev_b32_e32 v12, 9, v12
	v_sub_u32_e32 v14, v16, v14
	v_or_b32_e32 v12, v14, v12
	v_alignbit_b32 v14, v15, v17, 9
	v_or_b32_e32 v13, v14, v13
	v_xor_b32_e32 v13, 1.0, v13
	s_mov_b32 s4, 0x3fc90fda
	v_mul_f32_e32 v14, 0x3fc90fda, v13
	v_fma_f32 v15, v13, s4, -v14
	v_fmac_f32_e32 v15, 0x33a22168, v13
	v_fmac_f32_e32 v15, 0x3fc90fda, v12
	v_lshrrev_b32_e32 v11, 30, v11
	v_add_f32_e32 v12, v14, v15
	v_add_u32_e32 v11, v21, v11
	s_andn2_saveexec_b64 s[4:5], s[20:21]
	s_cbranch_execnz .LBB17_33
	s_branch .LBB17_34
.LBB17_32:
	s_andn2_saveexec_b64 s[4:5], s[20:21]
.LBB17_33:
	s_mov_b32 s6, 0x3f22f983
	v_mul_f32_e64 v11, |v3|, s6
	v_rndne_f32_e32 v13, v11
	s_mov_b32 s6, 0xbfc90fda
	v_cvt_i32_f32_e32 v11, v13
	v_fma_f32 v12, v13, s6, |v3|
	v_fmac_f32_e32 v12, 0xb3a22168, v13
	v_fmac_f32_e32 v12, 0xa7c234c4, v13
.LBB17_34:
	s_or_b64 exec, exec, s[4:5]
	s_mov_b32 s6, 0x41c80000
	v_div_scale_f32 v13, s[4:5], v6, v6, s6
	v_rcp_f32_e32 v14, v13
	v_div_scale_f32 v15, vcc, s6, v6, s6
	v_mov_b32_e32 v21, 0xbf000004
	v_fma_f32 v16, -v13, v14, 1.0
	v_fmac_f32_e32 v14, v16, v14
	v_mul_f32_e32 v16, v15, v14
	v_fma_f32 v17, -v13, v16, v15
	v_fmac_f32_e32 v16, v17, v14
	v_fma_f32 v13, -v13, v16, v15
	v_div_fmas_f32 v13, v13, v14, v16
	v_div_fixup_f32 v6, v13, v6, s6
	v_mov_b32_e32 v13, 0x3a50e985
	v_fmac_f32_e32 v13, 0, v6
	v_mov_b32_e32 v14, 0x3da9a586
	v_fmac_f32_e32 v14, v6, v13
	;; [unrolled: 2-line block ×12, first 2 shown]
	v_fma_f32 v13, v6, v15, 1.0
	v_mov_b32_e32 v15, 0xbc3a3a12
	v_fmac_f32_e32 v15, 0, v6
	v_mov_b32_e32 v16, 0xbfa429da
	v_fmac_f32_e32 v16, v6, v15
	;; [unrolled: 2-line block ×9, first 2 shown]
	v_mov_b32_e32 v17, 0x44561b86
	v_fma_f32 v14, v6, v14, 1.0
	v_fmac_f32_e32 v17, v6, v15
	v_mov_b32_e32 v15, 0x4572a66e
	v_div_scale_f32 v18, s[4:5], v13, v13, v14
	v_fmac_f32_e32 v15, v6, v17
	v_mov_b32_e32 v17, 0x45e243be
	v_rcp_f32_e32 v19, v18
	v_fmac_f32_e32 v17, v6, v15
	v_mov_b32_e32 v15, 0x45b955d1
	v_fmac_f32_e32 v15, v6, v17
	v_mov_b32_e32 v17, 0x4500e17e
	;; [unrolled: 2-line block ×3, first 2 shown]
	v_fmac_f32_e32 v15, v6, v17
	v_fma_f32 v6, -v18, v19, 1.0
	v_fmac_f32_e32 v19, v6, v19
	v_div_scale_f32 v6, vcc, v14, v13, v14
	v_mul_f32_e32 v17, v6, v19
	v_fma_f32 v20, -v18, v17, v6
	v_fmac_f32_e32 v17, v20, v19
	v_fma_f32 v6, -v18, v17, v6
	v_div_fmas_f32 v6, v6, v19, v17
	v_div_fixup_f32 v6, v6, v13, v14
	v_mul_f32_e32 v13, v10, v10
	v_mov_b32_e32 v19, 0xbab64f3b
	v_mov_b32_e32 v17, 0x3c0881c4
	v_fmac_f32_e32 v19, 0x37d75334, v13
	v_mov_b32_e32 v20, 0x3d2aabf7
	v_fmac_f32_e32 v17, 0xb94c1982, v13
	v_mov_b32_e32 v18, 0xbe2aaa9d
	v_fma_f32 v19, v13, v19, v20
	v_fma_f32 v17, v13, v17, v18
	;; [unrolled: 1-line block ×3, first 2 shown]
	v_mul_f32_e32 v17, v13, v17
	v_fma_f32 v13, v13, v19, 1.0
	v_and_b32_e32 v19, 1, v9
	v_fmac_f32_e32 v10, v10, v17
	v_cmp_eq_u32_e32 vcc, 0, v19
	v_lshlrev_b32_e32 v9, 30, v9
	v_cndmask_b32_e64 v10, -v10, v13, vcc
	v_and_b32_e32 v9, 0x80000000, v9
	s_mov_b32 s10, 0xc0a00000
	v_xor_b32_e32 v9, v9, v10
	v_div_scale_f32 v10, s[4:5], v7, v7, s10
	v_rcp_f32_e32 v13, v10
	s_movk_i32 s6, 0x1f8
	v_cmp_class_f32_e64 s[4:5], v3, s6
	v_mov_b32_e32 v14, 0x3c0881c4
	v_fma_f32 v22, -v10, v13, 1.0
	v_fmac_f32_e32 v13, v22, v13
	v_div_scale_f32 v22, vcc, s10, v7, s10
	v_mul_f32_e32 v23, v22, v13
	v_fma_f32 v24, -v10, v23, v22
	v_fmac_f32_e32 v23, v24, v13
	v_fma_f32 v10, -v10, v23, v22
	v_div_scale_f32 v22, s[6:7], v15, v15, v16
	v_rcp_f32_e32 v24, v22
	v_div_fmas_f32 v10, v10, v13, v23
	v_div_fixup_f32 v10, v10, v7, s10
	v_mov_b32_e32 v17, 0xbab64f3b
	v_fma_f32 v13, -v22, v24, 1.0
	v_fmac_f32_e32 v24, v13, v24
	v_div_scale_f32 v13, vcc, v16, v15, v16
	v_mul_f32_e32 v23, v13, v24
	v_fma_f32 v25, -v22, v23, v13
	v_fmac_f32_e32 v23, v25, v24
	v_fma_f32 v13, -v22, v23, v13
	v_div_fmas_f32 v13, v13, v24, v23
	v_div_fixup_f32 v13, v13, v15, v16
	v_mul_f32_e32 v10, v10, v13
	v_mul_f32_e32 v13, v12, v12
	v_fmac_f32_e32 v14, 0xb94c1982, v13
	v_fmac_f32_e32 v18, v13, v14
	;; [unrolled: 1-line block ×3, first 2 shown]
	v_mul_f32_e32 v14, v13, v18
	v_fmac_f32_e32 v20, v13, v17
	v_fmac_f32_e32 v12, v12, v14
	;; [unrolled: 1-line block ×3, first 2 shown]
	v_and_b32_e32 v14, 1, v11
	v_lshlrev_b32_e32 v11, 30, v11
	v_fma_f32 v13, v13, v21, 1.0
	v_cmp_eq_u32_e32 vcc, 0, v14
	v_and_b32_e32 v11, 0x80000000, v11
	v_xor_b32_e32 v3, v8, v3
	v_cndmask_b32_e32 v12, v13, v12, vcc
	v_xor_b32_e32 v3, v3, v11
	v_mov_b32_e32 v19, 0x7fc00000
	v_xor_b32_e32 v3, v3, v12
	v_cndmask_b32_e64 v9, v19, v9, s[4:5]
	v_cndmask_b32_e64 v3, v19, v3, s[4:5]
	s_mov_b32 s4, 0xf800000
	v_mul_f32_e32 v8, 0x4f800000, v7
	v_cmp_gt_f32_e32 vcc, s4, v7
	v_cndmask_b32_e32 v7, v7, v8, vcc
	v_sqrt_f32_e32 v8, v7
	v_mul_f32_e32 v3, v10, v3
	v_fmac_f32_e32 v3, v6, v9
	v_mul_f32_e32 v3, 0x3f4c422a, v3
	v_add_u32_e32 v6, -1, v8
	v_fma_f32 v9, -v6, v8, v7
	v_cmp_ge_f32_e64 s[4:5], 0, v9
	v_add_u32_e32 v9, 1, v8
	v_cndmask_b32_e64 v6, v8, v6, s[4:5]
	v_fma_f32 v8, -v9, v8, v7
	v_cmp_lt_f32_e64 s[4:5], 0, v8
	v_cndmask_b32_e64 v6, v6, v9, s[4:5]
	v_mul_f32_e32 v8, 0x37800000, v6
	v_cndmask_b32_e32 v6, v6, v8, vcc
	v_mov_b32_e32 v8, 0x260
	v_cmp_class_f32_e32 vcc, v7, v8
	v_cndmask_b32_e32 v6, v6, v7, vcc
	v_div_scale_f32 v7, s[4:5], v6, v6, v3
	v_rcp_f32_e32 v8, v7
	v_fma_f32 v9, -v7, v8, 1.0
	v_fmac_f32_e32 v8, v9, v8
	v_div_scale_f32 v9, vcc, v3, v6, v3
	v_mul_f32_e32 v10, v9, v8
	v_fma_f32 v11, -v7, v10, v9
	v_fmac_f32_e32 v10, v11, v8
	v_fma_f32 v7, -v7, v10, v9
	v_div_fmas_f32 v7, v7, v8, v10
	v_div_fixup_f32 v3, v7, v6, v3
.LBB17_35:
	s_or_b64 exec, exec, s[14:15]
	s_waitcnt vmcnt(0)
	v_cmp_gt_f32_e32 vcc, 0, v4
	v_cndmask_b32_e64 v7, v4, -v4, vcc
	s_mov_b32 s4, 0x40a00000
	v_cmp_ge_f32_e32 vcc, s4, v7
	v_mul_f32_e32 v6, v7, v7
                                        ; implicit-def: $vgpr4
	s_and_saveexec_b64 s[4:5], vcc
	s_xor_b64 s[4:5], exec, s[4:5]
	s_cbranch_execz .LBB17_41
; %bb.36:
	s_mov_b32 s6, 0x3727c5ac
	v_cmp_ngt_f32_e32 vcc, s6, v7
                                        ; implicit-def: $vgpr4
	s_and_saveexec_b64 s[6:7], vcc
	s_xor_b64 s[6:7], exec, s[6:7]
	s_cbranch_execz .LBB17_38
; %bb.37:
	v_mov_b32_e32 v4, 0x43f9c815
	v_fmac_f32_e32 v4, 0, v6
	v_mov_b32_e32 v7, 0x4829b65a
	v_fmac_f32_e32 v7, v6, v4
	;; [unrolled: 2-line block ×4, first 2 shown]
	s_mov_b32 s10, 0xcf8ee29d
	v_mul_f32_e32 v8, 0, v6
	v_mul_f32_e32 v9, v6, v7
	s_mov_b32 s11, 0x53f5f59c
	v_pk_add_f32 v[8:9], v[8:9], s[10:11]
	s_mov_b32 s10, 0x53e3ba8e
	s_mov_b32 s11, 0x578d3514
	v_pk_fma_f32 v[8:9], v[6:7], v[8:9], s[10:11] op_sel_hi:[0,1,1]
	s_mov_b32 s10, 0xd762b0a7
	s_mov_b32 s11, 0x5ae20a0c
	v_pk_fma_f32 v[8:9], v[6:7], v[8:9], s[10:11] op_sel_hi:[0,1,1]
	;; [unrolled: 3-line block ×3, first 2 shown]
	s_mov_b32 s10, 0xc0b90fdc
	s_mov_b32 s11, 0xc1f3c525
	v_pk_add_f32 v[6:7], v[6:7], s[10:11] op_sel_hi:[0,1]
	v_mul_f32_e32 v4, v6, v7
	v_mul_f32_e32 v4, v4, v8
	v_div_scale_f32 v6, s[10:11], v9, v9, v4
	v_rcp_f32_e32 v7, v6
	v_fma_f32 v8, -v6, v7, 1.0
	v_fmac_f32_e32 v7, v8, v7
	v_div_scale_f32 v8, vcc, v4, v9, v4
	v_mul_f32_e32 v10, v8, v7
	v_fma_f32 v11, -v6, v10, v8
	v_fmac_f32_e32 v10, v11, v7
	v_fma_f32 v6, -v6, v10, v8
	v_div_fmas_f32 v6, v6, v7, v10
	v_div_fixup_f32 v4, v6, v9, v4
                                        ; implicit-def: $vgpr6
.LBB17_38:
	s_andn2_saveexec_b64 s[6:7], s[6:7]
; %bb.39:
	s_mov_b32 s10, 0xbe800000
	v_fma_f32 v4, v6, s10, 1.0
; %bb.40:
	s_or_b64 exec, exec, s[6:7]
                                        ; implicit-def: $vgpr6
                                        ; implicit-def: $vgpr7
.LBB17_41:
	s_andn2_saveexec_b64 s[14:15], s[4:5]
	s_cbranch_execz .LBB17_51
; %bb.42:
	v_add_f32_e32 v4, 0xbf490fdb, v7
	v_and_b32_e32 v8, 0x7fffffff, v4
	s_brev_b32 s4, 18
	v_cmp_nlt_f32_e64 s[20:21], |v4|, s4
	v_lshrrev_b32_e32 v13, 23, v8
                                        ; implicit-def: $vgpr9
                                        ; implicit-def: $vgpr10
	s_and_saveexec_b64 s[4:5], s[20:21]
	s_xor_b64 s[22:23], exec, s[4:5]
	s_cbranch_execz .LBB17_44
; %bb.43:
	v_add_u32_e32 v9, 0xffffff88, v13
	v_not_b32_e32 v10, 63
	v_cmp_lt_u32_e32 vcc, 63, v9
	v_cndmask_b32_e32 v10, 0, v10, vcc
	v_add_u32_e32 v9, v10, v9
	v_not_b32_e32 v10, 31
	v_cmp_lt_u32_e64 s[4:5], 31, v9
	v_cndmask_b32_e64 v12, 0, v10, s[4:5]
	v_add_u32_e32 v9, v12, v9
	v_cmp_lt_u32_e64 s[6:7], 31, v9
	v_cndmask_b32_e64 v10, 0, v10, s[6:7]
	v_add_u32_e32 v9, v10, v9
	v_and_b32_e32 v10, 0x7fffff, v8
	v_or_b32_e32 v12, 0x800000, v10
	s_mov_b32 s10, 0xfe5163ab
	v_mad_u64_u32 v[14:15], s[10:11], v12, s10, 0
	v_mov_b32_e32 v11, 0
	v_mov_b32_e32 v10, v15
	s_mov_b32 s10, 0x3c439041
	v_mad_u64_u32 v[16:17], s[10:11], v12, s10, v[10:11]
	v_mov_b32_e32 v10, v17
	s_mov_b32 s10, 0xdb629599
	v_mad_u64_u32 v[18:19], s[10:11], v12, s10, v[10:11]
	;; [unrolled: 3-line block ×6, first 2 shown]
	v_cndmask_b32_e32 v15, v24, v20, vcc
	v_cndmask_b32_e32 v10, v10, v22, vcc
	;; [unrolled: 1-line block ×3, first 2 shown]
	v_cndmask_b32_e64 v12, v10, v15, s[4:5]
	v_cndmask_b32_e64 v10, v11, v10, s[4:5]
	v_cndmask_b32_e32 v11, v22, v18, vcc
	v_cndmask_b32_e64 v15, v15, v11, s[4:5]
	v_cndmask_b32_e64 v10, v10, v12, s[6:7]
	;; [unrolled: 1-line block ×3, first 2 shown]
	v_sub_u32_e32 v17, 32, v9
	v_alignbit_b32 v19, v10, v12, v17
	v_cmp_eq_u32_e64 s[10:11], 0, v9
	v_cndmask_b32_e64 v9, v19, v10, s[10:11]
	v_cndmask_b32_e32 v10, v20, v16, vcc
	v_cndmask_b32_e64 v11, v11, v10, s[4:5]
	v_cndmask_b32_e64 v15, v15, v11, s[6:7]
	v_alignbit_b32 v16, v12, v15, v17
	v_cndmask_b32_e64 v12, v16, v12, s[10:11]
	v_bfe_u32 v20, v9, 29, 1
	v_cndmask_b32_e32 v14, v18, v14, vcc
	v_alignbit_b32 v16, v9, v12, 30
	v_sub_u32_e32 v21, 0, v20
	v_cndmask_b32_e64 v10, v10, v14, s[4:5]
	v_xor_b32_e32 v22, v16, v21
	v_cndmask_b32_e64 v10, v11, v10, s[6:7]
	v_alignbit_b32 v11, v15, v10, v17
	v_ffbh_u32_e32 v14, v22
	v_cndmask_b32_e64 v11, v11, v15, s[10:11]
	v_add_u32_e32 v14, 1, v14
	v_cmp_ne_u32_e32 vcc, v16, v21
	v_alignbit_b32 v12, v12, v11, 30
	v_cndmask_b32_e32 v14, 33, v14, vcc
	v_alignbit_b32 v10, v11, v10, 30
	v_xor_b32_e32 v12, v12, v21
	v_sub_u32_e32 v15, 32, v14
	v_xor_b32_e32 v10, v10, v21
	v_alignbit_b32 v16, v22, v12, v15
	v_alignbit_b32 v10, v12, v10, v15
	;; [unrolled: 1-line block ×3, first 2 shown]
	v_ffbh_u32_e32 v12, v11
	v_min_u32_e32 v12, 32, v12
	v_lshrrev_b32_e32 v19, 29, v9
	v_sub_u32_e32 v15, 31, v12
	v_alignbit_b32 v10, v11, v10, v15
	v_lshlrev_b32_e32 v11, 31, v19
	v_or_b32_e32 v15, 0x33800000, v11
	v_add_lshl_u32 v12, v12, v14, 23
	v_lshrrev_b32_e32 v10, 9, v10
	v_sub_u32_e32 v12, v15, v12
	v_or_b32_e32 v10, v12, v10
	v_alignbit_b32 v12, v14, v16, 9
	v_or_b32_e32 v11, v12, v11
	v_xor_b32_e32 v11, 1.0, v11
	s_mov_b32 s4, 0x3fc90fda
	v_mul_f32_e32 v12, 0x3fc90fda, v11
	v_fma_f32 v14, v11, s4, -v12
	v_fmac_f32_e32 v14, 0x33a22168, v11
	v_fmac_f32_e32 v14, 0x3fc90fda, v10
	v_lshrrev_b32_e32 v9, 30, v9
	v_add_f32_e32 v10, v12, v14
	v_add_u32_e32 v9, v20, v9
	s_andn2_saveexec_b64 s[4:5], s[22:23]
	s_branch .LBB17_45
.LBB17_44:
	s_andn2_saveexec_b64 s[4:5], s[22:23]
.LBB17_45:
	s_mov_b32 s6, 0x3f22f983
	v_mul_f32_e64 v9, |v4|, s6
	v_rndne_f32_e32 v11, v9
	s_mov_b32 s6, 0xbfc90fda
	v_cvt_i32_f32_e32 v9, v11
	v_fma_f32 v10, v11, s6, |v4|
	v_fmac_f32_e32 v10, 0xb3a22168, v11
	v_fmac_f32_e32 v10, 0xa7c234c4, v11
; %bb.46:
	s_or_b64 exec, exec, s[4:5]
                                        ; implicit-def: $vgpr11
                                        ; implicit-def: $vgpr12
	s_and_saveexec_b64 s[4:5], s[20:21]
	s_xor_b64 s[20:21], exec, s[4:5]
	s_cbranch_execz .LBB17_48
; %bb.47:
	v_add_u32_e32 v11, 0xffffff88, v13
	v_not_b32_e32 v12, 63
	v_cmp_lt_u32_e32 vcc, 63, v11
	v_cndmask_b32_e32 v12, 0, v12, vcc
	v_add_u32_e32 v11, v12, v11
	v_not_b32_e32 v12, 31
	v_cmp_lt_u32_e64 s[4:5], 31, v11
	v_cndmask_b32_e64 v14, 0, v12, s[4:5]
	v_add_u32_e32 v11, v14, v11
	v_cmp_lt_u32_e64 s[6:7], 31, v11
	v_cndmask_b32_e64 v12, 0, v12, s[6:7]
	v_add_u32_e32 v11, v12, v11
	v_and_b32_e32 v12, 0x7fffff, v8
	v_or_b32_e32 v26, 0x800000, v12
	s_mov_b32 s10, 0xfe5163ab
	v_mad_u64_u32 v[14:15], s[10:11], v26, s10, 0
	v_mov_b32_e32 v13, 0
	v_mov_b32_e32 v12, v15
	s_mov_b32 s10, 0x3c439041
	v_mad_u64_u32 v[16:17], s[10:11], v26, s10, v[12:13]
	v_mov_b32_e32 v12, v17
	s_mov_b32 s10, 0xdb629599
	v_mad_u64_u32 v[18:19], s[10:11], v26, s10, v[12:13]
	;; [unrolled: 3-line block ×6, first 2 shown]
	v_cndmask_b32_e32 v15, v24, v20, vcc
	v_cndmask_b32_e32 v12, v12, v22, vcc
	v_cndmask_b32_e32 v13, v13, v24, vcc
	v_cndmask_b32_e64 v17, v12, v15, s[4:5]
	v_cndmask_b32_e64 v12, v13, v12, s[4:5]
	v_cndmask_b32_e32 v13, v22, v18, vcc
	v_cndmask_b32_e64 v15, v15, v13, s[4:5]
	v_cndmask_b32_e64 v12, v12, v17, s[6:7]
	;; [unrolled: 1-line block ×3, first 2 shown]
	v_sub_u32_e32 v19, 32, v11
	v_alignbit_b32 v21, v12, v17, v19
	v_cmp_eq_u32_e64 s[10:11], 0, v11
	v_cndmask_b32_e64 v11, v21, v12, s[10:11]
	v_cndmask_b32_e32 v12, v20, v16, vcc
	v_cndmask_b32_e64 v13, v13, v12, s[4:5]
	v_cndmask_b32_e64 v15, v15, v13, s[6:7]
	v_alignbit_b32 v16, v17, v15, v19
	v_cndmask_b32_e32 v14, v18, v14, vcc
	v_cndmask_b32_e64 v16, v16, v17, s[10:11]
	v_bfe_u32 v21, v11, 29, 1
	v_cndmask_b32_e64 v12, v12, v14, s[4:5]
	v_alignbit_b32 v17, v11, v16, 30
	v_sub_u32_e32 v22, 0, v21
	v_cndmask_b32_e64 v12, v13, v12, s[6:7]
	v_xor_b32_e32 v23, v17, v22
	v_alignbit_b32 v13, v15, v12, v19
	v_cndmask_b32_e64 v13, v13, v15, s[10:11]
	v_ffbh_u32_e32 v15, v23
	v_add_u32_e32 v15, 1, v15
	v_cmp_ne_u32_e32 vcc, v17, v22
	v_alignbit_b32 v14, v16, v13, 30
	v_cndmask_b32_e32 v15, 33, v15, vcc
	v_alignbit_b32 v12, v13, v12, 30
	v_xor_b32_e32 v14, v14, v22
	v_sub_u32_e32 v16, 32, v15
	v_xor_b32_e32 v12, v12, v22
	v_alignbit_b32 v17, v23, v14, v16
	v_alignbit_b32 v12, v14, v12, v16
	;; [unrolled: 1-line block ×3, first 2 shown]
	v_ffbh_u32_e32 v14, v13
	v_min_u32_e32 v14, 32, v14
	v_lshrrev_b32_e32 v20, 29, v11
	v_sub_u32_e32 v16, 31, v14
	v_alignbit_b32 v12, v13, v12, v16
	v_lshlrev_b32_e32 v13, 31, v20
	v_or_b32_e32 v16, 0x33800000, v13
	v_add_lshl_u32 v14, v14, v15, 23
	v_lshrrev_b32_e32 v12, 9, v12
	v_sub_u32_e32 v14, v16, v14
	v_or_b32_e32 v12, v14, v12
	v_alignbit_b32 v14, v15, v17, 9
	v_or_b32_e32 v13, v14, v13
	v_xor_b32_e32 v13, 1.0, v13
	s_mov_b32 s4, 0x3fc90fda
	v_mul_f32_e32 v14, 0x3fc90fda, v13
	v_fma_f32 v15, v13, s4, -v14
	v_fmac_f32_e32 v15, 0x33a22168, v13
	v_fmac_f32_e32 v15, 0x3fc90fda, v12
	v_lshrrev_b32_e32 v11, 30, v11
	v_add_f32_e32 v12, v14, v15
	v_add_u32_e32 v11, v21, v11
	s_andn2_saveexec_b64 s[4:5], s[20:21]
	s_cbranch_execnz .LBB17_49
	s_branch .LBB17_50
.LBB17_48:
	s_andn2_saveexec_b64 s[4:5], s[20:21]
.LBB17_49:
	s_mov_b32 s6, 0x3f22f983
	v_mul_f32_e64 v11, |v4|, s6
	v_rndne_f32_e32 v13, v11
	s_mov_b32 s6, 0xbfc90fda
	v_cvt_i32_f32_e32 v11, v13
	v_fma_f32 v12, v13, s6, |v4|
	v_fmac_f32_e32 v12, 0xb3a22168, v13
	v_fmac_f32_e32 v12, 0xa7c234c4, v13
.LBB17_50:
	s_or_b64 exec, exec, s[4:5]
	s_mov_b32 s6, 0x41c80000
	v_div_scale_f32 v13, s[4:5], v6, v6, s6
	v_rcp_f32_e32 v14, v13
	v_div_scale_f32 v15, vcc, s6, v6, s6
	v_mov_b32_e32 v21, 0xbf000004
	v_fma_f32 v16, -v13, v14, 1.0
	v_fmac_f32_e32 v14, v16, v14
	v_mul_f32_e32 v16, v15, v14
	v_fma_f32 v17, -v13, v16, v15
	v_fmac_f32_e32 v16, v17, v14
	v_fma_f32 v13, -v13, v16, v15
	v_div_fmas_f32 v13, v13, v14, v16
	v_div_fixup_f32 v6, v13, v6, s6
	v_mov_b32_e32 v13, 0x3a50e985
	v_fmac_f32_e32 v13, 0, v6
	v_mov_b32_e32 v14, 0x3da9a586
	v_fmac_f32_e32 v14, v6, v13
	;; [unrolled: 2-line block ×12, first 2 shown]
	v_fma_f32 v13, v6, v15, 1.0
	v_mov_b32_e32 v15, 0xbc3a3a12
	v_fmac_f32_e32 v15, 0, v6
	v_mov_b32_e32 v16, 0xbfa429da
	v_fmac_f32_e32 v16, v6, v15
	;; [unrolled: 2-line block ×9, first 2 shown]
	v_mov_b32_e32 v17, 0x44561b86
	v_fma_f32 v14, v6, v14, 1.0
	v_fmac_f32_e32 v17, v6, v15
	v_mov_b32_e32 v15, 0x4572a66e
	v_div_scale_f32 v18, s[4:5], v13, v13, v14
	v_fmac_f32_e32 v15, v6, v17
	v_mov_b32_e32 v17, 0x45e243be
	v_rcp_f32_e32 v19, v18
	v_fmac_f32_e32 v17, v6, v15
	v_mov_b32_e32 v15, 0x45b955d1
	v_fmac_f32_e32 v15, v6, v17
	v_mov_b32_e32 v17, 0x4500e17e
	v_fmac_f32_e32 v17, v6, v15
	v_mov_b32_e32 v15, 0x43720178
	v_fmac_f32_e32 v15, v6, v17
	v_fma_f32 v6, -v18, v19, 1.0
	v_fmac_f32_e32 v19, v6, v19
	v_div_scale_f32 v6, vcc, v14, v13, v14
	v_mul_f32_e32 v17, v6, v19
	v_fma_f32 v20, -v18, v17, v6
	v_fmac_f32_e32 v17, v20, v19
	v_fma_f32 v6, -v18, v17, v6
	v_div_fmas_f32 v6, v6, v19, v17
	v_div_fixup_f32 v6, v6, v13, v14
	v_mul_f32_e32 v13, v10, v10
	v_mov_b32_e32 v19, 0xbab64f3b
	v_mov_b32_e32 v17, 0x3c0881c4
	v_fmac_f32_e32 v19, 0x37d75334, v13
	v_mov_b32_e32 v20, 0x3d2aabf7
	v_fmac_f32_e32 v17, 0xb94c1982, v13
	v_mov_b32_e32 v18, 0xbe2aaa9d
	v_fma_f32 v19, v13, v19, v20
	v_fma_f32 v17, v13, v17, v18
	;; [unrolled: 1-line block ×3, first 2 shown]
	v_mul_f32_e32 v17, v13, v17
	v_fma_f32 v13, v13, v19, 1.0
	v_and_b32_e32 v19, 1, v9
	v_fmac_f32_e32 v10, v10, v17
	v_cmp_eq_u32_e32 vcc, 0, v19
	v_lshlrev_b32_e32 v9, 30, v9
	v_cndmask_b32_e64 v10, -v10, v13, vcc
	v_and_b32_e32 v9, 0x80000000, v9
	s_mov_b32 s10, 0xc0a00000
	v_xor_b32_e32 v9, v9, v10
	v_div_scale_f32 v10, s[4:5], v7, v7, s10
	v_rcp_f32_e32 v13, v10
	s_movk_i32 s6, 0x1f8
	v_cmp_class_f32_e64 s[4:5], v4, s6
	v_mov_b32_e32 v14, 0x3c0881c4
	v_fma_f32 v22, -v10, v13, 1.0
	v_fmac_f32_e32 v13, v22, v13
	v_div_scale_f32 v22, vcc, s10, v7, s10
	v_mul_f32_e32 v23, v22, v13
	v_fma_f32 v24, -v10, v23, v22
	v_fmac_f32_e32 v23, v24, v13
	v_fma_f32 v10, -v10, v23, v22
	v_div_scale_f32 v22, s[6:7], v15, v15, v16
	v_rcp_f32_e32 v24, v22
	v_div_fmas_f32 v10, v10, v13, v23
	v_div_fixup_f32 v10, v10, v7, s10
	v_mov_b32_e32 v17, 0xbab64f3b
	v_fma_f32 v13, -v22, v24, 1.0
	v_fmac_f32_e32 v24, v13, v24
	v_div_scale_f32 v13, vcc, v16, v15, v16
	v_mul_f32_e32 v23, v13, v24
	v_fma_f32 v25, -v22, v23, v13
	v_fmac_f32_e32 v23, v25, v24
	v_fma_f32 v13, -v22, v23, v13
	v_div_fmas_f32 v13, v13, v24, v23
	v_div_fixup_f32 v13, v13, v15, v16
	v_mul_f32_e32 v10, v10, v13
	v_mul_f32_e32 v13, v12, v12
	v_fmac_f32_e32 v14, 0xb94c1982, v13
	v_fmac_f32_e32 v18, v13, v14
	;; [unrolled: 1-line block ×3, first 2 shown]
	v_mul_f32_e32 v14, v13, v18
	v_fmac_f32_e32 v20, v13, v17
	v_fmac_f32_e32 v12, v12, v14
	;; [unrolled: 1-line block ×3, first 2 shown]
	v_and_b32_e32 v14, 1, v11
	v_lshlrev_b32_e32 v11, 30, v11
	v_fma_f32 v13, v13, v21, 1.0
	v_cmp_eq_u32_e32 vcc, 0, v14
	v_and_b32_e32 v11, 0x80000000, v11
	v_xor_b32_e32 v4, v8, v4
	v_cndmask_b32_e32 v12, v13, v12, vcc
	v_xor_b32_e32 v4, v4, v11
	v_mov_b32_e32 v19, 0x7fc00000
	v_xor_b32_e32 v4, v4, v12
	v_cndmask_b32_e64 v9, v19, v9, s[4:5]
	v_cndmask_b32_e64 v4, v19, v4, s[4:5]
	s_mov_b32 s4, 0xf800000
	v_mul_f32_e32 v8, 0x4f800000, v7
	v_cmp_gt_f32_e32 vcc, s4, v7
	v_cndmask_b32_e32 v7, v7, v8, vcc
	v_sqrt_f32_e32 v8, v7
	v_mul_f32_e32 v4, v10, v4
	v_fmac_f32_e32 v4, v6, v9
	v_mul_f32_e32 v4, 0x3f4c422a, v4
	v_add_u32_e32 v6, -1, v8
	v_fma_f32 v9, -v6, v8, v7
	v_cmp_ge_f32_e64 s[4:5], 0, v9
	v_add_u32_e32 v9, 1, v8
	v_cndmask_b32_e64 v6, v8, v6, s[4:5]
	v_fma_f32 v8, -v9, v8, v7
	v_cmp_lt_f32_e64 s[4:5], 0, v8
	v_cndmask_b32_e64 v6, v6, v9, s[4:5]
	v_mul_f32_e32 v8, 0x37800000, v6
	v_cndmask_b32_e32 v6, v6, v8, vcc
	v_mov_b32_e32 v8, 0x260
	v_cmp_class_f32_e32 vcc, v7, v8
	v_cndmask_b32_e32 v6, v6, v7, vcc
	v_div_scale_f32 v7, s[4:5], v6, v6, v4
	v_rcp_f32_e32 v8, v7
	v_fma_f32 v9, -v7, v8, 1.0
	v_fmac_f32_e32 v8, v9, v8
	v_div_scale_f32 v9, vcc, v4, v6, v4
	v_mul_f32_e32 v10, v9, v8
	v_fma_f32 v11, -v7, v10, v9
	v_fmac_f32_e32 v10, v11, v8
	v_fma_f32 v7, -v7, v10, v9
	v_div_fmas_f32 v7, v7, v8, v10
	v_div_fixup_f32 v4, v7, v6, v4
.LBB17_51:
	s_or_b64 exec, exec, s[14:15]
	v_cmp_gt_f32_e32 vcc, 0, v5
	v_cndmask_b32_e64 v7, v5, -v5, vcc
	s_mov_b32 s4, 0x40a00000
	v_cmp_ge_f32_e32 vcc, s4, v7
	v_mul_f32_e32 v6, v7, v7
	s_and_saveexec_b64 s[4:5], vcc
	s_xor_b64 s[4:5], exec, s[4:5]
	s_cbranch_execz .LBB17_57
; %bb.52:
	s_mov_b32 s6, 0x3727c5ac
	v_cmp_ngt_f32_e32 vcc, s6, v7
	s_and_saveexec_b64 s[6:7], vcc
	s_xor_b64 s[6:7], exec, s[6:7]
	s_cbranch_execz .LBB17_54
; %bb.53:
	v_mov_b32_e32 v5, 0x43f9c815
	v_fmac_f32_e32 v5, 0, v6
	v_mov_b32_e32 v7, 0x4829b65a
	v_fmac_f32_e32 v7, v6, v5
	;; [unrolled: 2-line block ×4, first 2 shown]
	s_mov_b32 s10, 0xcf8ee29d
	v_mul_f32_e32 v8, 0, v6
	v_mul_f32_e32 v9, v6, v7
	s_mov_b32 s11, 0x53f5f59c
	v_pk_add_f32 v[8:9], v[8:9], s[10:11]
	s_mov_b32 s10, 0x53e3ba8e
	s_mov_b32 s11, 0x578d3514
	v_pk_fma_f32 v[8:9], v[6:7], v[8:9], s[10:11] op_sel_hi:[0,1,1]
	s_mov_b32 s10, 0xd762b0a7
	s_mov_b32 s11, 0x5ae20a0c
	v_pk_fma_f32 v[8:9], v[6:7], v[8:9], s[10:11] op_sel_hi:[0,1,1]
	;; [unrolled: 3-line block ×3, first 2 shown]
	s_mov_b32 s10, 0xc0b90fdc
	s_mov_b32 s11, 0xc1f3c525
	v_pk_add_f32 v[6:7], v[6:7], s[10:11] op_sel_hi:[0,1]
	v_mul_f32_e32 v5, v6, v7
	v_mul_f32_e32 v5, v5, v8
	v_div_scale_f32 v6, s[10:11], v9, v9, v5
	v_rcp_f32_e32 v7, v6
	v_fma_f32 v8, -v6, v7, 1.0
	v_fmac_f32_e32 v7, v8, v7
	v_div_scale_f32 v8, vcc, v5, v9, v5
	v_mul_f32_e32 v10, v8, v7
	v_fma_f32 v11, -v6, v10, v8
	v_fmac_f32_e32 v10, v11, v7
	v_fma_f32 v6, -v6, v10, v8
	v_div_fmas_f32 v6, v6, v7, v10
	v_div_fixup_f32 v5, v6, v9, v5
                                        ; implicit-def: $vgpr6
.LBB17_54:
	s_andn2_saveexec_b64 s[6:7], s[6:7]
; %bb.55:
	s_mov_b32 s10, 0xbe800000
	v_fma_f32 v5, v6, s10, 1.0
; %bb.56:
	s_or_b64 exec, exec, s[6:7]
                                        ; implicit-def: $vgpr6
                                        ; implicit-def: $vgpr7
.LBB17_57:
	s_andn2_saveexec_b64 s[14:15], s[4:5]
	s_cbranch_execz .LBB17_67
; %bb.58:
	v_add_f32_e32 v5, 0xbf490fdb, v7
	v_and_b32_e32 v8, 0x7fffffff, v5
	s_brev_b32 s4, 18
	v_cmp_nlt_f32_e64 s[20:21], |v5|, s4
	v_lshrrev_b32_e32 v13, 23, v8
                                        ; implicit-def: $vgpr9
                                        ; implicit-def: $vgpr10
	s_and_saveexec_b64 s[4:5], s[20:21]
	s_xor_b64 s[22:23], exec, s[4:5]
	s_cbranch_execz .LBB17_60
; %bb.59:
	v_add_u32_e32 v9, 0xffffff88, v13
	v_not_b32_e32 v10, 63
	v_cmp_lt_u32_e32 vcc, 63, v9
	v_cndmask_b32_e32 v10, 0, v10, vcc
	v_add_u32_e32 v9, v10, v9
	v_not_b32_e32 v10, 31
	v_cmp_lt_u32_e64 s[4:5], 31, v9
	v_cndmask_b32_e64 v12, 0, v10, s[4:5]
	v_add_u32_e32 v9, v12, v9
	v_cmp_lt_u32_e64 s[6:7], 31, v9
	v_cndmask_b32_e64 v10, 0, v10, s[6:7]
	v_add_u32_e32 v9, v10, v9
	v_and_b32_e32 v10, 0x7fffff, v8
	v_or_b32_e32 v12, 0x800000, v10
	s_mov_b32 s10, 0xfe5163ab
	v_mad_u64_u32 v[14:15], s[10:11], v12, s10, 0
	v_mov_b32_e32 v11, 0
	v_mov_b32_e32 v10, v15
	s_mov_b32 s10, 0x3c439041
	v_mad_u64_u32 v[16:17], s[10:11], v12, s10, v[10:11]
	v_mov_b32_e32 v10, v17
	s_mov_b32 s10, 0xdb629599
	v_mad_u64_u32 v[18:19], s[10:11], v12, s10, v[10:11]
	;; [unrolled: 3-line block ×6, first 2 shown]
	v_cndmask_b32_e32 v15, v24, v20, vcc
	v_cndmask_b32_e32 v10, v10, v22, vcc
	;; [unrolled: 1-line block ×3, first 2 shown]
	v_cndmask_b32_e64 v12, v10, v15, s[4:5]
	v_cndmask_b32_e64 v10, v11, v10, s[4:5]
	v_cndmask_b32_e32 v11, v22, v18, vcc
	v_cndmask_b32_e64 v15, v15, v11, s[4:5]
	v_cndmask_b32_e64 v10, v10, v12, s[6:7]
	;; [unrolled: 1-line block ×3, first 2 shown]
	v_sub_u32_e32 v17, 32, v9
	v_alignbit_b32 v19, v10, v12, v17
	v_cmp_eq_u32_e64 s[10:11], 0, v9
	v_cndmask_b32_e64 v9, v19, v10, s[10:11]
	v_cndmask_b32_e32 v10, v20, v16, vcc
	v_cndmask_b32_e64 v11, v11, v10, s[4:5]
	v_cndmask_b32_e64 v15, v15, v11, s[6:7]
	v_alignbit_b32 v16, v12, v15, v17
	v_cndmask_b32_e64 v12, v16, v12, s[10:11]
	v_bfe_u32 v20, v9, 29, 1
	v_cndmask_b32_e32 v14, v18, v14, vcc
	v_alignbit_b32 v16, v9, v12, 30
	v_sub_u32_e32 v21, 0, v20
	v_cndmask_b32_e64 v10, v10, v14, s[4:5]
	v_xor_b32_e32 v22, v16, v21
	v_cndmask_b32_e64 v10, v11, v10, s[6:7]
	v_alignbit_b32 v11, v15, v10, v17
	v_ffbh_u32_e32 v14, v22
	v_cndmask_b32_e64 v11, v11, v15, s[10:11]
	v_add_u32_e32 v14, 1, v14
	v_cmp_ne_u32_e32 vcc, v16, v21
	v_alignbit_b32 v12, v12, v11, 30
	v_cndmask_b32_e32 v14, 33, v14, vcc
	v_alignbit_b32 v10, v11, v10, 30
	v_xor_b32_e32 v12, v12, v21
	v_sub_u32_e32 v15, 32, v14
	v_xor_b32_e32 v10, v10, v21
	v_alignbit_b32 v16, v22, v12, v15
	v_alignbit_b32 v10, v12, v10, v15
	v_alignbit_b32 v11, v16, v10, 9
	v_ffbh_u32_e32 v12, v11
	v_min_u32_e32 v12, 32, v12
	v_lshrrev_b32_e32 v19, 29, v9
	v_sub_u32_e32 v15, 31, v12
	v_alignbit_b32 v10, v11, v10, v15
	v_lshlrev_b32_e32 v11, 31, v19
	v_or_b32_e32 v15, 0x33800000, v11
	v_add_lshl_u32 v12, v12, v14, 23
	v_lshrrev_b32_e32 v10, 9, v10
	v_sub_u32_e32 v12, v15, v12
	v_or_b32_e32 v10, v12, v10
	v_alignbit_b32 v12, v14, v16, 9
	v_or_b32_e32 v11, v12, v11
	v_xor_b32_e32 v11, 1.0, v11
	s_mov_b32 s4, 0x3fc90fda
	v_mul_f32_e32 v12, 0x3fc90fda, v11
	v_fma_f32 v14, v11, s4, -v12
	v_fmac_f32_e32 v14, 0x33a22168, v11
	v_fmac_f32_e32 v14, 0x3fc90fda, v10
	v_lshrrev_b32_e32 v9, 30, v9
	v_add_f32_e32 v10, v12, v14
	v_add_u32_e32 v9, v20, v9
	s_andn2_saveexec_b64 s[4:5], s[22:23]
	s_branch .LBB17_61
.LBB17_60:
	s_andn2_saveexec_b64 s[4:5], s[22:23]
.LBB17_61:
	s_mov_b32 s6, 0x3f22f983
	v_mul_f32_e64 v9, |v5|, s6
	v_rndne_f32_e32 v11, v9
	s_mov_b32 s6, 0xbfc90fda
	v_cvt_i32_f32_e32 v9, v11
	v_fma_f32 v10, v11, s6, |v5|
	v_fmac_f32_e32 v10, 0xb3a22168, v11
	v_fmac_f32_e32 v10, 0xa7c234c4, v11
; %bb.62:
	s_or_b64 exec, exec, s[4:5]
                                        ; implicit-def: $vgpr11
                                        ; implicit-def: $vgpr12
	s_and_saveexec_b64 s[4:5], s[20:21]
	s_xor_b64 s[20:21], exec, s[4:5]
	s_cbranch_execz .LBB17_64
; %bb.63:
	v_add_u32_e32 v11, 0xffffff88, v13
	v_not_b32_e32 v12, 63
	v_cmp_lt_u32_e32 vcc, 63, v11
	v_cndmask_b32_e32 v12, 0, v12, vcc
	v_add_u32_e32 v11, v12, v11
	v_not_b32_e32 v12, 31
	v_cmp_lt_u32_e64 s[4:5], 31, v11
	v_cndmask_b32_e64 v14, 0, v12, s[4:5]
	v_add_u32_e32 v11, v14, v11
	v_cmp_lt_u32_e64 s[6:7], 31, v11
	v_cndmask_b32_e64 v12, 0, v12, s[6:7]
	v_add_u32_e32 v11, v12, v11
	v_and_b32_e32 v12, 0x7fffff, v8
	v_or_b32_e32 v26, 0x800000, v12
	s_mov_b32 s10, 0xfe5163ab
	v_mad_u64_u32 v[14:15], s[10:11], v26, s10, 0
	v_mov_b32_e32 v13, 0
	v_mov_b32_e32 v12, v15
	s_mov_b32 s10, 0x3c439041
	v_mad_u64_u32 v[16:17], s[10:11], v26, s10, v[12:13]
	v_mov_b32_e32 v12, v17
	s_mov_b32 s10, 0xdb629599
	v_mad_u64_u32 v[18:19], s[10:11], v26, s10, v[12:13]
	;; [unrolled: 3-line block ×6, first 2 shown]
	v_cndmask_b32_e32 v15, v24, v20, vcc
	v_cndmask_b32_e32 v12, v12, v22, vcc
	;; [unrolled: 1-line block ×3, first 2 shown]
	v_cndmask_b32_e64 v17, v12, v15, s[4:5]
	v_cndmask_b32_e64 v12, v13, v12, s[4:5]
	v_cndmask_b32_e32 v13, v22, v18, vcc
	v_cndmask_b32_e64 v15, v15, v13, s[4:5]
	v_cndmask_b32_e64 v12, v12, v17, s[6:7]
	;; [unrolled: 1-line block ×3, first 2 shown]
	v_sub_u32_e32 v19, 32, v11
	v_alignbit_b32 v21, v12, v17, v19
	v_cmp_eq_u32_e64 s[10:11], 0, v11
	v_cndmask_b32_e64 v11, v21, v12, s[10:11]
	v_cndmask_b32_e32 v12, v20, v16, vcc
	v_cndmask_b32_e64 v13, v13, v12, s[4:5]
	v_cndmask_b32_e64 v15, v15, v13, s[6:7]
	v_alignbit_b32 v16, v17, v15, v19
	v_cndmask_b32_e32 v14, v18, v14, vcc
	v_cndmask_b32_e64 v16, v16, v17, s[10:11]
	v_bfe_u32 v21, v11, 29, 1
	v_cndmask_b32_e64 v12, v12, v14, s[4:5]
	v_alignbit_b32 v17, v11, v16, 30
	v_sub_u32_e32 v22, 0, v21
	v_cndmask_b32_e64 v12, v13, v12, s[6:7]
	v_xor_b32_e32 v23, v17, v22
	v_alignbit_b32 v13, v15, v12, v19
	v_cndmask_b32_e64 v13, v13, v15, s[10:11]
	v_ffbh_u32_e32 v15, v23
	v_add_u32_e32 v15, 1, v15
	v_cmp_ne_u32_e32 vcc, v17, v22
	v_alignbit_b32 v14, v16, v13, 30
	v_cndmask_b32_e32 v15, 33, v15, vcc
	v_alignbit_b32 v12, v13, v12, 30
	v_xor_b32_e32 v14, v14, v22
	v_sub_u32_e32 v16, 32, v15
	v_xor_b32_e32 v12, v12, v22
	v_alignbit_b32 v17, v23, v14, v16
	v_alignbit_b32 v12, v14, v12, v16
	;; [unrolled: 1-line block ×3, first 2 shown]
	v_ffbh_u32_e32 v14, v13
	v_min_u32_e32 v14, 32, v14
	v_lshrrev_b32_e32 v20, 29, v11
	v_sub_u32_e32 v16, 31, v14
	v_alignbit_b32 v12, v13, v12, v16
	v_lshlrev_b32_e32 v13, 31, v20
	v_or_b32_e32 v16, 0x33800000, v13
	v_add_lshl_u32 v14, v14, v15, 23
	v_lshrrev_b32_e32 v12, 9, v12
	v_sub_u32_e32 v14, v16, v14
	v_or_b32_e32 v12, v14, v12
	v_alignbit_b32 v14, v15, v17, 9
	v_or_b32_e32 v13, v14, v13
	v_xor_b32_e32 v13, 1.0, v13
	s_mov_b32 s4, 0x3fc90fda
	v_mul_f32_e32 v14, 0x3fc90fda, v13
	v_fma_f32 v15, v13, s4, -v14
	v_fmac_f32_e32 v15, 0x33a22168, v13
	v_fmac_f32_e32 v15, 0x3fc90fda, v12
	v_lshrrev_b32_e32 v11, 30, v11
	v_add_f32_e32 v12, v14, v15
	v_add_u32_e32 v11, v21, v11
	s_andn2_saveexec_b64 s[4:5], s[20:21]
	s_cbranch_execnz .LBB17_65
	s_branch .LBB17_66
.LBB17_64:
	s_andn2_saveexec_b64 s[4:5], s[20:21]
.LBB17_65:
	s_mov_b32 s6, 0x3f22f983
	v_mul_f32_e64 v11, |v5|, s6
	v_rndne_f32_e32 v13, v11
	s_mov_b32 s6, 0xbfc90fda
	v_cvt_i32_f32_e32 v11, v13
	v_fma_f32 v12, v13, s6, |v5|
	v_fmac_f32_e32 v12, 0xb3a22168, v13
	v_fmac_f32_e32 v12, 0xa7c234c4, v13
.LBB17_66:
	s_or_b64 exec, exec, s[4:5]
	s_mov_b32 s6, 0x41c80000
	v_div_scale_f32 v13, s[4:5], v6, v6, s6
	v_rcp_f32_e32 v14, v13
	v_div_scale_f32 v15, vcc, s6, v6, s6
	v_mov_b32_e32 v21, 0xbf000004
	v_fma_f32 v16, -v13, v14, 1.0
	v_fmac_f32_e32 v14, v16, v14
	v_mul_f32_e32 v16, v15, v14
	v_fma_f32 v17, -v13, v16, v15
	v_fmac_f32_e32 v16, v17, v14
	v_fma_f32 v13, -v13, v16, v15
	v_div_fmas_f32 v13, v13, v14, v16
	v_div_fixup_f32 v6, v13, v6, s6
	v_mov_b32_e32 v13, 0x3a50e985
	v_fmac_f32_e32 v13, 0, v6
	v_mov_b32_e32 v14, 0x3da9a586
	v_fmac_f32_e32 v14, v6, v13
	;; [unrolled: 2-line block ×12, first 2 shown]
	v_fma_f32 v13, v6, v15, 1.0
	v_mov_b32_e32 v15, 0xbc3a3a12
	v_fmac_f32_e32 v15, 0, v6
	v_mov_b32_e32 v16, 0xbfa429da
	v_fmac_f32_e32 v16, v6, v15
	;; [unrolled: 2-line block ×9, first 2 shown]
	v_mov_b32_e32 v17, 0x44561b86
	v_fma_f32 v14, v6, v14, 1.0
	v_fmac_f32_e32 v17, v6, v15
	v_mov_b32_e32 v15, 0x4572a66e
	v_div_scale_f32 v18, s[4:5], v13, v13, v14
	v_fmac_f32_e32 v15, v6, v17
	v_mov_b32_e32 v17, 0x45e243be
	v_rcp_f32_e32 v19, v18
	v_fmac_f32_e32 v17, v6, v15
	v_mov_b32_e32 v15, 0x45b955d1
	v_fmac_f32_e32 v15, v6, v17
	v_mov_b32_e32 v17, 0x4500e17e
	v_fmac_f32_e32 v17, v6, v15
	v_mov_b32_e32 v15, 0x43720178
	v_fmac_f32_e32 v15, v6, v17
	v_fma_f32 v6, -v18, v19, 1.0
	v_fmac_f32_e32 v19, v6, v19
	v_div_scale_f32 v6, vcc, v14, v13, v14
	v_mul_f32_e32 v17, v6, v19
	v_fma_f32 v20, -v18, v17, v6
	v_fmac_f32_e32 v17, v20, v19
	v_fma_f32 v6, -v18, v17, v6
	v_div_fmas_f32 v6, v6, v19, v17
	v_div_fixup_f32 v6, v6, v13, v14
	v_mul_f32_e32 v13, v10, v10
	v_mov_b32_e32 v19, 0xbab64f3b
	v_mov_b32_e32 v17, 0x3c0881c4
	v_fmac_f32_e32 v19, 0x37d75334, v13
	v_mov_b32_e32 v20, 0x3d2aabf7
	v_fmac_f32_e32 v17, 0xb94c1982, v13
	v_mov_b32_e32 v18, 0xbe2aaa9d
	v_fma_f32 v19, v13, v19, v20
	v_fma_f32 v17, v13, v17, v18
	;; [unrolled: 1-line block ×3, first 2 shown]
	v_mul_f32_e32 v17, v13, v17
	v_fma_f32 v13, v13, v19, 1.0
	v_and_b32_e32 v19, 1, v9
	v_fmac_f32_e32 v10, v10, v17
	v_cmp_eq_u32_e32 vcc, 0, v19
	v_lshlrev_b32_e32 v9, 30, v9
	v_cndmask_b32_e64 v10, -v10, v13, vcc
	v_and_b32_e32 v9, 0x80000000, v9
	s_mov_b32 s10, 0xc0a00000
	v_xor_b32_e32 v9, v9, v10
	v_div_scale_f32 v10, s[4:5], v7, v7, s10
	v_rcp_f32_e32 v13, v10
	s_movk_i32 s6, 0x1f8
	v_cmp_class_f32_e64 s[4:5], v5, s6
	v_mov_b32_e32 v14, 0x3c0881c4
	v_fma_f32 v22, -v10, v13, 1.0
	v_fmac_f32_e32 v13, v22, v13
	v_div_scale_f32 v22, vcc, s10, v7, s10
	v_mul_f32_e32 v23, v22, v13
	v_fma_f32 v24, -v10, v23, v22
	v_fmac_f32_e32 v23, v24, v13
	v_fma_f32 v10, -v10, v23, v22
	v_div_scale_f32 v22, s[6:7], v15, v15, v16
	v_rcp_f32_e32 v24, v22
	v_div_fmas_f32 v10, v10, v13, v23
	v_div_fixup_f32 v10, v10, v7, s10
	v_mov_b32_e32 v17, 0xbab64f3b
	v_fma_f32 v13, -v22, v24, 1.0
	v_fmac_f32_e32 v24, v13, v24
	v_div_scale_f32 v13, vcc, v16, v15, v16
	v_mul_f32_e32 v23, v13, v24
	v_fma_f32 v25, -v22, v23, v13
	v_fmac_f32_e32 v23, v25, v24
	v_fma_f32 v13, -v22, v23, v13
	v_div_fmas_f32 v13, v13, v24, v23
	v_div_fixup_f32 v13, v13, v15, v16
	v_mul_f32_e32 v10, v10, v13
	v_mul_f32_e32 v13, v12, v12
	v_fmac_f32_e32 v14, 0xb94c1982, v13
	v_fmac_f32_e32 v18, v13, v14
	;; [unrolled: 1-line block ×3, first 2 shown]
	v_mul_f32_e32 v14, v13, v18
	v_fmac_f32_e32 v20, v13, v17
	v_fmac_f32_e32 v12, v12, v14
	;; [unrolled: 1-line block ×3, first 2 shown]
	v_and_b32_e32 v14, 1, v11
	v_lshlrev_b32_e32 v11, 30, v11
	v_fma_f32 v13, v13, v21, 1.0
	v_cmp_eq_u32_e32 vcc, 0, v14
	v_and_b32_e32 v11, 0x80000000, v11
	v_xor_b32_e32 v5, v8, v5
	v_cndmask_b32_e32 v12, v13, v12, vcc
	v_xor_b32_e32 v5, v5, v11
	v_mov_b32_e32 v19, 0x7fc00000
	v_xor_b32_e32 v5, v5, v12
	v_cndmask_b32_e64 v9, v19, v9, s[4:5]
	v_cndmask_b32_e64 v5, v19, v5, s[4:5]
	s_mov_b32 s4, 0xf800000
	v_mul_f32_e32 v8, 0x4f800000, v7
	v_cmp_gt_f32_e32 vcc, s4, v7
	v_cndmask_b32_e32 v7, v7, v8, vcc
	v_sqrt_f32_e32 v8, v7
	v_mul_f32_e32 v5, v10, v5
	v_fmac_f32_e32 v5, v6, v9
	v_mul_f32_e32 v5, 0x3f4c422a, v5
	v_add_u32_e32 v6, -1, v8
	v_fma_f32 v9, -v6, v8, v7
	v_cmp_ge_f32_e64 s[4:5], 0, v9
	v_add_u32_e32 v9, 1, v8
	v_cndmask_b32_e64 v6, v8, v6, s[4:5]
	v_fma_f32 v8, -v9, v8, v7
	v_cmp_lt_f32_e64 s[4:5], 0, v8
	v_cndmask_b32_e64 v6, v6, v9, s[4:5]
	v_mul_f32_e32 v8, 0x37800000, v6
	v_cndmask_b32_e32 v6, v6, v8, vcc
	v_mov_b32_e32 v8, 0x260
	v_cmp_class_f32_e32 vcc, v7, v8
	v_cndmask_b32_e32 v6, v6, v7, vcc
	v_div_scale_f32 v7, s[4:5], v6, v6, v5
	v_rcp_f32_e32 v8, v7
	v_fma_f32 v9, -v7, v8, 1.0
	v_fmac_f32_e32 v8, v9, v8
	v_div_scale_f32 v9, vcc, v5, v6, v5
	v_mul_f32_e32 v10, v9, v8
	v_fma_f32 v11, -v7, v10, v9
	v_fmac_f32_e32 v10, v11, v8
	v_fma_f32 v7, -v7, v10, v9
	v_div_fmas_f32 v7, v7, v8, v10
	v_div_fixup_f32 v5, v7, v6, v5
.LBB17_67:
	s_or_b64 exec, exec, s[14:15]
	s_add_u32 s4, s16, s12
	s_addc_u32 s5, s17, s13
	global_store_dwordx2 v1, v[2:3], s[4:5]
	global_store_dwordx2 v1, v[4:5], s[4:5] offset:2048
.LBB17_68:
	s_endpgm
	.section	.rodata,"a",@progbits
	.p2align	6, 0x0
	.amdhsa_kernel _ZN2at6native29vectorized_elementwise_kernelILi2EZZZNS0_12_GLOBAL__N_121bessel_j0_kernel_cudaERNS_18TensorIteratorBaseEENKUlvE_clEvENKUlvE0_clEvEUlfE_St5arrayIPcLm2EEEEviT0_T1_
		.amdhsa_group_segment_fixed_size 0
		.amdhsa_private_segment_fixed_size 0
		.amdhsa_kernarg_size 24
		.amdhsa_user_sgpr_count 8
		.amdhsa_user_sgpr_private_segment_buffer 1
		.amdhsa_user_sgpr_dispatch_ptr 0
		.amdhsa_user_sgpr_queue_ptr 0
		.amdhsa_user_sgpr_kernarg_segment_ptr 1
		.amdhsa_user_sgpr_dispatch_id 0
		.amdhsa_user_sgpr_flat_scratch_init 1
		.amdhsa_user_sgpr_kernarg_preload_length 0
		.amdhsa_user_sgpr_kernarg_preload_offset 0
		.amdhsa_user_sgpr_private_segment_size 0
		.amdhsa_uses_dynamic_stack 0
		.amdhsa_system_sgpr_private_segment_wavefront_offset 0
		.amdhsa_system_sgpr_workgroup_id_x 1
		.amdhsa_system_sgpr_workgroup_id_y 0
		.amdhsa_system_sgpr_workgroup_id_z 0
		.amdhsa_system_sgpr_workgroup_info 0
		.amdhsa_system_vgpr_workitem_id 0
		.amdhsa_next_free_vgpr 33
		.amdhsa_next_free_sgpr 33
		.amdhsa_accum_offset 36
		.amdhsa_reserve_vcc 1
		.amdhsa_reserve_flat_scratch 1
		.amdhsa_float_round_mode_32 0
		.amdhsa_float_round_mode_16_64 0
		.amdhsa_float_denorm_mode_32 3
		.amdhsa_float_denorm_mode_16_64 3
		.amdhsa_dx10_clamp 1
		.amdhsa_ieee_mode 1
		.amdhsa_fp16_overflow 0
		.amdhsa_tg_split 0
		.amdhsa_exception_fp_ieee_invalid_op 0
		.amdhsa_exception_fp_denorm_src 0
		.amdhsa_exception_fp_ieee_div_zero 0
		.amdhsa_exception_fp_ieee_overflow 0
		.amdhsa_exception_fp_ieee_underflow 0
		.amdhsa_exception_fp_ieee_inexact 0
		.amdhsa_exception_int_div_zero 0
	.end_amdhsa_kernel
	.section	.text._ZN2at6native29vectorized_elementwise_kernelILi2EZZZNS0_12_GLOBAL__N_121bessel_j0_kernel_cudaERNS_18TensorIteratorBaseEENKUlvE_clEvENKUlvE0_clEvEUlfE_St5arrayIPcLm2EEEEviT0_T1_,"axG",@progbits,_ZN2at6native29vectorized_elementwise_kernelILi2EZZZNS0_12_GLOBAL__N_121bessel_j0_kernel_cudaERNS_18TensorIteratorBaseEENKUlvE_clEvENKUlvE0_clEvEUlfE_St5arrayIPcLm2EEEEviT0_T1_,comdat
.Lfunc_end17:
	.size	_ZN2at6native29vectorized_elementwise_kernelILi2EZZZNS0_12_GLOBAL__N_121bessel_j0_kernel_cudaERNS_18TensorIteratorBaseEENKUlvE_clEvENKUlvE0_clEvEUlfE_St5arrayIPcLm2EEEEviT0_T1_, .Lfunc_end17-_ZN2at6native29vectorized_elementwise_kernelILi2EZZZNS0_12_GLOBAL__N_121bessel_j0_kernel_cudaERNS_18TensorIteratorBaseEENKUlvE_clEvENKUlvE0_clEvEUlfE_St5arrayIPcLm2EEEEviT0_T1_
                                        ; -- End function
	.section	.AMDGPU.csdata,"",@progbits
; Kernel info:
; codeLenInByte = 11668
; NumSgprs: 39
; NumVgprs: 33
; NumAgprs: 0
; TotalNumVgprs: 33
; ScratchSize: 0
; MemoryBound: 0
; FloatMode: 240
; IeeeMode: 1
; LDSByteSize: 0 bytes/workgroup (compile time only)
; SGPRBlocks: 4
; VGPRBlocks: 4
; NumSGPRsForWavesPerEU: 39
; NumVGPRsForWavesPerEU: 33
; AccumOffset: 36
; Occupancy: 8
; WaveLimiterHint : 1
; COMPUTE_PGM_RSRC2:SCRATCH_EN: 0
; COMPUTE_PGM_RSRC2:USER_SGPR: 8
; COMPUTE_PGM_RSRC2:TRAP_HANDLER: 0
; COMPUTE_PGM_RSRC2:TGID_X_EN: 1
; COMPUTE_PGM_RSRC2:TGID_Y_EN: 0
; COMPUTE_PGM_RSRC2:TGID_Z_EN: 0
; COMPUTE_PGM_RSRC2:TIDIG_COMP_CNT: 0
; COMPUTE_PGM_RSRC3_GFX90A:ACCUM_OFFSET: 8
; COMPUTE_PGM_RSRC3_GFX90A:TG_SPLIT: 0
	.section	.text._ZN2at6native27unrolled_elementwise_kernelIZZZNS0_12_GLOBAL__N_121bessel_j0_kernel_cudaERNS_18TensorIteratorBaseEENKUlvE_clEvENKUlvE0_clEvEUlfE_St5arrayIPcLm2EELi4E23TrivialOffsetCalculatorILi1EjESC_NS0_6memory15LoadWithoutCastENSD_16StoreWithoutCastEEEviT_T0_T2_T3_T4_T5_,"axG",@progbits,_ZN2at6native27unrolled_elementwise_kernelIZZZNS0_12_GLOBAL__N_121bessel_j0_kernel_cudaERNS_18TensorIteratorBaseEENKUlvE_clEvENKUlvE0_clEvEUlfE_St5arrayIPcLm2EELi4E23TrivialOffsetCalculatorILi1EjESC_NS0_6memory15LoadWithoutCastENSD_16StoreWithoutCastEEEviT_T0_T2_T3_T4_T5_,comdat
	.globl	_ZN2at6native27unrolled_elementwise_kernelIZZZNS0_12_GLOBAL__N_121bessel_j0_kernel_cudaERNS_18TensorIteratorBaseEENKUlvE_clEvENKUlvE0_clEvEUlfE_St5arrayIPcLm2EELi4E23TrivialOffsetCalculatorILi1EjESC_NS0_6memory15LoadWithoutCastENSD_16StoreWithoutCastEEEviT_T0_T2_T3_T4_T5_ ; -- Begin function _ZN2at6native27unrolled_elementwise_kernelIZZZNS0_12_GLOBAL__N_121bessel_j0_kernel_cudaERNS_18TensorIteratorBaseEENKUlvE_clEvENKUlvE0_clEvEUlfE_St5arrayIPcLm2EELi4E23TrivialOffsetCalculatorILi1EjESC_NS0_6memory15LoadWithoutCastENSD_16StoreWithoutCastEEEviT_T0_T2_T3_T4_T5_
	.p2align	8
	.type	_ZN2at6native27unrolled_elementwise_kernelIZZZNS0_12_GLOBAL__N_121bessel_j0_kernel_cudaERNS_18TensorIteratorBaseEENKUlvE_clEvENKUlvE0_clEvEUlfE_St5arrayIPcLm2EELi4E23TrivialOffsetCalculatorILi1EjESC_NS0_6memory15LoadWithoutCastENSD_16StoreWithoutCastEEEviT_T0_T2_T3_T4_T5_,@function
_ZN2at6native27unrolled_elementwise_kernelIZZZNS0_12_GLOBAL__N_121bessel_j0_kernel_cudaERNS_18TensorIteratorBaseEENKUlvE_clEvENKUlvE0_clEvEUlfE_St5arrayIPcLm2EELi4E23TrivialOffsetCalculatorILi1EjESC_NS0_6memory15LoadWithoutCastENSD_16StoreWithoutCastEEEviT_T0_T2_T3_T4_T5_: ; @_ZN2at6native27unrolled_elementwise_kernelIZZZNS0_12_GLOBAL__N_121bessel_j0_kernel_cudaERNS_18TensorIteratorBaseEENKUlvE_clEvENKUlvE0_clEvEUlfE_St5arrayIPcLm2EELi4E23TrivialOffsetCalculatorILi1EjESC_NS0_6memory15LoadWithoutCastENSD_16StoreWithoutCastEEEviT_T0_T2_T3_T4_T5_
; %bb.0:
	s_add_u32 flat_scratch_lo, s6, s9
	s_load_dword s6, s[4:5], 0x0
	s_load_dwordx4 s[16:19], s[4:5], 0x8
	s_addc_u32 flat_scratch_hi, s7, 0
	s_add_u32 s0, s0, s9
	s_addc_u32 s1, s1, 0
	s_lshl_b32 s4, s8, 10
	s_waitcnt lgkmcnt(0)
	s_sub_i32 s6, s6, s4
	s_mov_b32 s12, s8
	v_mov_b32_e32 v31, v0
	v_mov_b32_e32 v0, s16
	;; [unrolled: 1-line block ×6, first 2 shown]
	s_mov_b32 s32, 0
	s_getpc_b64 s[4:5]
	s_add_u32 s4, s4, _ZN2at6native25elementwise_kernel_helperILb0EZZZNS0_12_GLOBAL__N_121bessel_j0_kernel_cudaERNS_18TensorIteratorBaseEENKUlvE_clEvENKUlvE0_clEvEUlfE_NS0_6memory8policies11unroll_baseILi256ESt5arrayIPcLm2EE23TrivialOffsetCalculatorILi1EjESF_NS8_15LoadWithoutCastENS8_16StoreWithoutCastELi4ELi1EEEEEvT0_T1_@rel32@lo+4
	s_addc_u32 s5, s5, _ZN2at6native25elementwise_kernel_helperILb0EZZZNS0_12_GLOBAL__N_121bessel_j0_kernel_cudaERNS_18TensorIteratorBaseEENKUlvE_clEvENKUlvE0_clEvEUlfE_NS0_6memory8policies11unroll_baseILi256ESt5arrayIPcLm2EE23TrivialOffsetCalculatorILi1EjESF_NS8_15LoadWithoutCastENS8_16StoreWithoutCastELi4ELi1EEEEEvT0_T1_@rel32@hi+12
	s_swappc_b64 s[30:31], s[4:5]
	s_endpgm
	.section	.rodata,"a",@progbits
	.p2align	6, 0x0
	.amdhsa_kernel _ZN2at6native27unrolled_elementwise_kernelIZZZNS0_12_GLOBAL__N_121bessel_j0_kernel_cudaERNS_18TensorIteratorBaseEENKUlvE_clEvENKUlvE0_clEvEUlfE_St5arrayIPcLm2EELi4E23TrivialOffsetCalculatorILi1EjESC_NS0_6memory15LoadWithoutCastENSD_16StoreWithoutCastEEEviT_T0_T2_T3_T4_T5_
		.amdhsa_group_segment_fixed_size 0
		.amdhsa_private_segment_fixed_size 0
		.amdhsa_kernarg_size 28
		.amdhsa_user_sgpr_count 8
		.amdhsa_user_sgpr_private_segment_buffer 1
		.amdhsa_user_sgpr_dispatch_ptr 0
		.amdhsa_user_sgpr_queue_ptr 0
		.amdhsa_user_sgpr_kernarg_segment_ptr 1
		.amdhsa_user_sgpr_dispatch_id 0
		.amdhsa_user_sgpr_flat_scratch_init 1
		.amdhsa_user_sgpr_kernarg_preload_length 0
		.amdhsa_user_sgpr_kernarg_preload_offset 0
		.amdhsa_user_sgpr_private_segment_size 0
		.amdhsa_uses_dynamic_stack 0
		.amdhsa_system_sgpr_private_segment_wavefront_offset 0
		.amdhsa_system_sgpr_workgroup_id_x 1
		.amdhsa_system_sgpr_workgroup_id_y 0
		.amdhsa_system_sgpr_workgroup_id_z 0
		.amdhsa_system_sgpr_workgroup_info 0
		.amdhsa_system_vgpr_workitem_id 0
		.amdhsa_next_free_vgpr 33
		.amdhsa_next_free_sgpr 33
		.amdhsa_accum_offset 36
		.amdhsa_reserve_vcc 1
		.amdhsa_reserve_flat_scratch 1
		.amdhsa_float_round_mode_32 0
		.amdhsa_float_round_mode_16_64 0
		.amdhsa_float_denorm_mode_32 3
		.amdhsa_float_denorm_mode_16_64 3
		.amdhsa_dx10_clamp 1
		.amdhsa_ieee_mode 1
		.amdhsa_fp16_overflow 0
		.amdhsa_tg_split 0
		.amdhsa_exception_fp_ieee_invalid_op 0
		.amdhsa_exception_fp_denorm_src 0
		.amdhsa_exception_fp_ieee_div_zero 0
		.amdhsa_exception_fp_ieee_overflow 0
		.amdhsa_exception_fp_ieee_underflow 0
		.amdhsa_exception_fp_ieee_inexact 0
		.amdhsa_exception_int_div_zero 0
	.end_amdhsa_kernel
	.section	.text._ZN2at6native27unrolled_elementwise_kernelIZZZNS0_12_GLOBAL__N_121bessel_j0_kernel_cudaERNS_18TensorIteratorBaseEENKUlvE_clEvENKUlvE0_clEvEUlfE_St5arrayIPcLm2EELi4E23TrivialOffsetCalculatorILi1EjESC_NS0_6memory15LoadWithoutCastENSD_16StoreWithoutCastEEEviT_T0_T2_T3_T4_T5_,"axG",@progbits,_ZN2at6native27unrolled_elementwise_kernelIZZZNS0_12_GLOBAL__N_121bessel_j0_kernel_cudaERNS_18TensorIteratorBaseEENKUlvE_clEvENKUlvE0_clEvEUlfE_St5arrayIPcLm2EELi4E23TrivialOffsetCalculatorILi1EjESC_NS0_6memory15LoadWithoutCastENSD_16StoreWithoutCastEEEviT_T0_T2_T3_T4_T5_,comdat
.Lfunc_end18:
	.size	_ZN2at6native27unrolled_elementwise_kernelIZZZNS0_12_GLOBAL__N_121bessel_j0_kernel_cudaERNS_18TensorIteratorBaseEENKUlvE_clEvENKUlvE0_clEvEUlfE_St5arrayIPcLm2EELi4E23TrivialOffsetCalculatorILi1EjESC_NS0_6memory15LoadWithoutCastENSD_16StoreWithoutCastEEEviT_T0_T2_T3_T4_T5_, .Lfunc_end18-_ZN2at6native27unrolled_elementwise_kernelIZZZNS0_12_GLOBAL__N_121bessel_j0_kernel_cudaERNS_18TensorIteratorBaseEENKUlvE_clEvENKUlvE0_clEvEUlfE_St5arrayIPcLm2EELi4E23TrivialOffsetCalculatorILi1EjESC_NS0_6memory15LoadWithoutCastENSD_16StoreWithoutCastEEEviT_T0_T2_T3_T4_T5_
                                        ; -- End function
	.section	.AMDGPU.csdata,"",@progbits
; Kernel info:
; codeLenInByte = 104
; NumSgprs: 39
; NumVgprs: 33
; NumAgprs: 0
; TotalNumVgprs: 33
; ScratchSize: 0
; MemoryBound: 0
; FloatMode: 240
; IeeeMode: 1
; LDSByteSize: 0 bytes/workgroup (compile time only)
; SGPRBlocks: 4
; VGPRBlocks: 4
; NumSGPRsForWavesPerEU: 39
; NumVGPRsForWavesPerEU: 33
; AccumOffset: 36
; Occupancy: 8
; WaveLimiterHint : 0
; COMPUTE_PGM_RSRC2:SCRATCH_EN: 0
; COMPUTE_PGM_RSRC2:USER_SGPR: 8
; COMPUTE_PGM_RSRC2:TRAP_HANDLER: 0
; COMPUTE_PGM_RSRC2:TGID_X_EN: 1
; COMPUTE_PGM_RSRC2:TGID_Y_EN: 0
; COMPUTE_PGM_RSRC2:TGID_Z_EN: 0
; COMPUTE_PGM_RSRC2:TIDIG_COMP_CNT: 0
; COMPUTE_PGM_RSRC3_GFX90A:ACCUM_OFFSET: 8
; COMPUTE_PGM_RSRC3_GFX90A:TG_SPLIT: 0
	.section	.text._ZN2at6native32elementwise_kernel_manual_unrollILi128ELi4EZNS0_22gpu_kernel_impl_nocastIZZZNS0_12_GLOBAL__N_121bessel_j0_kernel_cudaERNS_18TensorIteratorBaseEENKUlvE_clEvENKUlvE0_clEvEUlfE_EEvS5_RKT_EUlibE_EEviT1_,"axG",@progbits,_ZN2at6native32elementwise_kernel_manual_unrollILi128ELi4EZNS0_22gpu_kernel_impl_nocastIZZZNS0_12_GLOBAL__N_121bessel_j0_kernel_cudaERNS_18TensorIteratorBaseEENKUlvE_clEvENKUlvE0_clEvEUlfE_EEvS5_RKT_EUlibE_EEviT1_,comdat
	.globl	_ZN2at6native32elementwise_kernel_manual_unrollILi128ELi4EZNS0_22gpu_kernel_impl_nocastIZZZNS0_12_GLOBAL__N_121bessel_j0_kernel_cudaERNS_18TensorIteratorBaseEENKUlvE_clEvENKUlvE0_clEvEUlfE_EEvS5_RKT_EUlibE_EEviT1_ ; -- Begin function _ZN2at6native32elementwise_kernel_manual_unrollILi128ELi4EZNS0_22gpu_kernel_impl_nocastIZZZNS0_12_GLOBAL__N_121bessel_j0_kernel_cudaERNS_18TensorIteratorBaseEENKUlvE_clEvENKUlvE0_clEvEUlfE_EEvS5_RKT_EUlibE_EEviT1_
	.p2align	8
	.type	_ZN2at6native32elementwise_kernel_manual_unrollILi128ELi4EZNS0_22gpu_kernel_impl_nocastIZZZNS0_12_GLOBAL__N_121bessel_j0_kernel_cudaERNS_18TensorIteratorBaseEENKUlvE_clEvENKUlvE0_clEvEUlfE_EEvS5_RKT_EUlibE_EEviT1_,@function
_ZN2at6native32elementwise_kernel_manual_unrollILi128ELi4EZNS0_22gpu_kernel_impl_nocastIZZZNS0_12_GLOBAL__N_121bessel_j0_kernel_cudaERNS_18TensorIteratorBaseEENKUlvE_clEvENKUlvE0_clEvEUlfE_EEvS5_RKT_EUlibE_EEviT1_: ; @_ZN2at6native32elementwise_kernel_manual_unrollILi128ELi4EZNS0_22gpu_kernel_impl_nocastIZZZNS0_12_GLOBAL__N_121bessel_j0_kernel_cudaERNS_18TensorIteratorBaseEENKUlvE_clEvENKUlvE0_clEvEUlfE_EEvS5_RKT_EUlibE_EEviT1_
; %bb.0:
	s_load_dword s57, s[4:5], 0x0
	s_load_dword s33, s[4:5], 0x8
	s_or_b32 s4, s4, 8
	v_lshl_or_b32 v4, s6, 9, v0
	v_or_b32_e32 v9, 0x180, v4
	s_waitcnt lgkmcnt(0)
	v_cmp_le_i32_e32 vcc, s57, v9
	s_add_i32 s56, s33, -1
	s_cmp_gt_u32 s56, 1
	s_cselect_b64 s[34:35], -1, 0
	s_and_saveexec_b64 s[0:1], vcc
	s_xor_b64 s[40:41], exec, s[0:1]
	s_cbranch_execz .LBB19_8
; %bb.1:
	s_load_dwordx4 s[36:39], s[4:5], 0x4
	s_load_dwordx2 s[42:43], s[4:5], 0x14
	s_load_dwordx4 s[28:31], s[4:5], 0xc4
	s_load_dwordx4 s[24:27], s[4:5], 0x148
	s_cmp_lg_u32 s33, 0
	s_cselect_b64 s[48:49], -1, 0
	s_add_u32 s46, s4, 0xc4
	s_addc_u32 s47, s5, 0
	s_min_u32 s58, s56, 15
	s_cmp_gt_u32 s33, 1
	s_cselect_b64 s[44:45], -1, 0
	v_cmp_gt_i32_e32 vcc, s57, v4
	s_and_saveexec_b64 s[50:51], vcc
	s_cbranch_execz .LBB19_16
; %bb.2:
	s_andn2_b64 vcc, exec, s[34:35]
	s_cbranch_vccnz .LBB19_24
; %bb.3:
	s_mov_b32 s6, 0
	s_andn2_b64 vcc, exec, s[48:49]
	v_mov_b32_e32 v2, 0
	v_mov_b32_e32 v0, 0
	s_cbranch_vccnz .LBB19_144
; %bb.4:
	s_add_i32 s59, s58, 1
	s_cmp_eq_u32 s56, 2
	s_cbranch_scc1 .LBB19_139
; %bb.5:
	s_and_b32 s6, s59, 28
	s_mov_b32 s7, 0
	v_mov_b32_e32 v0, 0
	s_mov_b64 s[52:53], s[4:5]
	s_mov_b64 s[54:55], s[46:47]
	v_mov_b32_e32 v3, v4
	v_mov_b32_e32 v2, 0
.LBB19_6:                               ; =>This Inner Loop Header: Depth=1
	s_load_dwordx8 s[16:23], s[52:53], 0x4
	s_load_dwordx4 s[0:3], s[52:53], 0x24
	s_load_dwordx8 s[8:15], s[54:55], 0x0
	s_add_u32 s52, s52, 48
	s_addc_u32 s53, s53, 0
	s_waitcnt lgkmcnt(0)
	v_mul_hi_u32 v1, s17, v3
	v_add_u32_e32 v1, v3, v1
	v_lshrrev_b32_e32 v1, s18, v1
	v_mul_lo_u32 v5, v1, s16
	v_mul_hi_u32 v6, s20, v1
	v_sub_u32_e32 v3, v3, v5
	v_add_u32_e32 v5, v1, v6
	v_lshrrev_b32_e32 v5, s21, v5
	v_mul_lo_u32 v7, v5, s19
	v_mul_hi_u32 v8, s23, v5
	v_sub_u32_e32 v1, v1, v7
	v_add_u32_e32 v7, v5, v8
	v_mul_lo_u32 v6, v3, s9
	v_mul_lo_u32 v3, v3, s8
	;; [unrolled: 1-line block ×4, first 2 shown]
	v_lshrrev_b32_e32 v7, s0, v7
	v_add3_u32 v0, v3, v0, v1
	v_mul_hi_u32 v3, s2, v7
	v_add_u32_e32 v3, v7, v3
	v_lshrrev_b32_e32 v3, s3, v3
	s_add_i32 s7, s7, 4
	v_add3_u32 v1, v6, v2, v8
	v_mul_lo_u32 v2, v7, s22
	v_mul_lo_u32 v6, v3, s1
	s_add_u32 s54, s54, 32
	v_sub_u32_e32 v2, v5, v2
	v_sub_u32_e32 v6, v7, v6
	s_addc_u32 s55, s55, 0
	v_mul_lo_u32 v5, v2, s12
	v_mul_lo_u32 v2, v2, s13
	;; [unrolled: 1-line block ×4, first 2 shown]
	s_cmp_lg_u32 s6, s7
	v_add3_u32 v2, v2, v1, v6
	v_add3_u32 v0, v5, v0, v7
	s_cbranch_scc1 .LBB19_6
; %bb.7:
	v_mov_b32_e32 v1, v2
	s_branch .LBB19_140
.LBB19_8:
	s_andn2_saveexec_b64 s[0:1], s[40:41]
	s_cbranch_execz .LBB19_199
.LBB19_9:
	v_cndmask_b32_e64 v0, 0, 1, s[34:35]
	v_cmp_ne_u32_e64 s[0:1], 1, v0
	s_andn2_b64 vcc, exec, s[34:35]
	s_cbranch_vccnz .LBB19_23
; %bb.10:
	s_mov_b32 s2, 0
	s_cmp_lg_u32 s33, 0
	v_mov_b32_e32 v14, 0
	v_mov_b32_e32 v0, 0
	s_cbranch_scc0 .LBB19_15
; %bb.11:
	s_waitcnt lgkmcnt(0)
	s_min_u32 s30, s56, 15
	s_add_i32 s30, s30, 1
	s_cmp_eq_u32 s56, 2
	s_cbranch_scc1 .LBB19_26
; %bb.12:
	s_add_u32 s6, s4, 0xc4
	s_addc_u32 s7, s5, 0
	s_and_b32 s2, s30, 28
	s_mov_b32 s3, 0
	v_mov_b32_e32 v0, 0
	s_mov_b64 s[28:29], s[4:5]
	v_mov_b32_e32 v2, v4
	v_mov_b32_e32 v14, 0
.LBB19_13:                              ; =>This Inner Loop Header: Depth=1
	s_load_dwordx8 s[16:23], s[28:29], 0x4
	s_load_dwordx4 s[24:27], s[28:29], 0x24
	s_load_dwordx8 s[8:15], s[6:7], 0x0
	s_add_u32 s28, s28, 48
	s_addc_u32 s29, s29, 0
	s_waitcnt lgkmcnt(0)
	v_mul_hi_u32 v1, s17, v2
	v_add_u32_e32 v1, v2, v1
	v_lshrrev_b32_e32 v1, s18, v1
	v_mul_lo_u32 v3, v1, s16
	v_mul_hi_u32 v5, s20, v1
	v_sub_u32_e32 v2, v2, v3
	v_add_u32_e32 v3, v1, v5
	v_lshrrev_b32_e32 v3, s21, v3
	v_mul_lo_u32 v6, v3, s19
	v_mul_hi_u32 v7, s23, v3
	v_sub_u32_e32 v1, v1, v6
	v_add_u32_e32 v6, v3, v7
	v_mul_lo_u32 v5, v2, s9
	v_mul_lo_u32 v2, v2, s8
	;; [unrolled: 1-line block ×4, first 2 shown]
	v_lshrrev_b32_e32 v6, s24, v6
	v_add3_u32 v0, v2, v0, v1
	v_add3_u32 v1, v5, v14, v7
	v_mul_lo_u32 v2, v6, s22
	v_mul_hi_u32 v5, s26, v6
	v_sub_u32_e32 v2, v3, v2
	v_add_u32_e32 v3, v6, v5
	v_mul_lo_u32 v5, v2, s12
	v_mul_lo_u32 v7, v2, s13
	v_lshrrev_b32_e32 v2, s27, v3
	s_add_i32 s3, s3, 4
	v_mul_lo_u32 v3, v2, s25
	s_add_u32 s6, s6, 32
	v_sub_u32_e32 v3, v6, v3
	s_addc_u32 s7, s7, 0
	v_mul_lo_u32 v6, v3, s14
	v_mul_lo_u32 v3, v3, s15
	s_cmp_lg_u32 s2, s3
	v_add3_u32 v14, v7, v1, v3
	v_add3_u32 v0, v5, v0, v6
	s_cbranch_scc1 .LBB19_13
; %bb.14:
	v_mov_b32_e32 v1, v14
	s_and_b32 s8, s30, 3
	s_cmp_eq_u32 s8, 0
	s_cbranch_scc0 .LBB19_27
.LBB19_15:
	s_cbranch_execz .LBB19_30
	s_branch .LBB19_32
.LBB19_16:
	s_or_b64 exec, exec, s[50:51]
	v_cmp_gt_i32_e32 vcc, s57, v4
	s_and_saveexec_b64 s[50:51], vcc
	s_cbranch_execz .LBB19_164
.LBB19_17:
	s_andn2_b64 vcc, exec, s[34:35]
	s_cbranch_vccnz .LBB19_25
; %bb.18:
	s_mov_b32 s6, 0
	s_andn2_b64 vcc, exec, s[48:49]
	v_mov_b32_e32 v2, 0
	v_mov_b32_e32 v0, 0
	s_cbranch_vccnz .LBB19_177
; %bb.19:
	s_add_i32 s59, s58, 1
	s_cmp_eq_u32 s56, 2
	s_cbranch_scc1 .LBB19_172
; %bb.20:
	s_and_b32 s6, s59, 28
	s_mov_b32 s7, 0
	v_mov_b32_e32 v0, 0
	s_mov_b64 s[52:53], s[4:5]
	s_mov_b64 s[54:55], s[46:47]
	v_mov_b32_e32 v3, v4
	v_mov_b32_e32 v2, 0
.LBB19_21:                              ; =>This Inner Loop Header: Depth=1
	s_load_dwordx8 s[16:23], s[52:53], 0x4
	s_load_dwordx4 s[0:3], s[52:53], 0x24
	s_load_dwordx8 s[8:15], s[54:55], 0x0
	s_add_u32 s52, s52, 48
	s_addc_u32 s53, s53, 0
	s_waitcnt lgkmcnt(0)
	v_mul_hi_u32 v1, s17, v3
	v_add_u32_e32 v1, v3, v1
	v_lshrrev_b32_e32 v1, s18, v1
	v_mul_lo_u32 v5, v1, s16
	v_mul_hi_u32 v6, s20, v1
	v_sub_u32_e32 v3, v3, v5
	v_add_u32_e32 v5, v1, v6
	v_lshrrev_b32_e32 v5, s21, v5
	v_mul_lo_u32 v7, v5, s19
	v_mul_hi_u32 v8, s23, v5
	v_sub_u32_e32 v1, v1, v7
	v_add_u32_e32 v7, v5, v8
	v_mul_lo_u32 v6, v3, s9
	v_mul_lo_u32 v3, v3, s8
	;; [unrolled: 1-line block ×4, first 2 shown]
	v_lshrrev_b32_e32 v7, s0, v7
	v_add3_u32 v0, v3, v0, v1
	v_mul_hi_u32 v3, s2, v7
	v_add_u32_e32 v3, v7, v3
	v_lshrrev_b32_e32 v3, s3, v3
	s_add_i32 s7, s7, 4
	v_add3_u32 v1, v6, v2, v8
	v_mul_lo_u32 v2, v7, s22
	v_mul_lo_u32 v6, v3, s1
	s_add_u32 s54, s54, 32
	v_sub_u32_e32 v2, v5, v2
	v_sub_u32_e32 v6, v7, v6
	s_addc_u32 s55, s55, 0
	v_mul_lo_u32 v5, v2, s12
	v_mul_lo_u32 v2, v2, s13
	;; [unrolled: 1-line block ×4, first 2 shown]
	s_cmp_eq_u32 s6, s7
	v_add3_u32 v2, v2, v1, v6
	v_add3_u32 v0, v5, v0, v7
	s_cbranch_scc0 .LBB19_21
; %bb.22:
	v_mov_b32_e32 v1, v2
	s_branch .LBB19_173
.LBB19_23:
                                        ; implicit-def: $vgpr14
                                        ; implicit-def: $vgpr0
	s_branch .LBB19_30
.LBB19_24:
                                        ; implicit-def: $vgpr2
                                        ; implicit-def: $vgpr0
	s_branch .LBB19_145
.LBB19_25:
                                        ; implicit-def: $vgpr2
                                        ; implicit-def: $vgpr0
	s_branch .LBB19_178
.LBB19_26:
	s_mov_b32 s3, s2
	v_pk_mov_b32 v[0:1], s[2:3], s[2:3] op_sel:[0,1]
                                        ; implicit-def: $vgpr14
	v_mov_b32_e32 v2, v4
	s_and_b32 s8, s30, 3
	s_cmp_eq_u32 s8, 0
	s_cbranch_scc1 .LBB19_15
.LBB19_27:
	s_lshl_b32 s3, s2, 3
	s_add_u32 s3, s3, s4
	s_addc_u32 s7, 0, s5
	s_add_u32 s6, s3, 0xc4
	s_addc_u32 s7, s7, 0
	s_mul_i32 s2, s2, 12
	s_add_u32 s2, s4, s2
	s_addc_u32 s3, 0, s5
.LBB19_28:                              ; =>This Inner Loop Header: Depth=1
	s_load_dwordx2 s[10:11], s[2:3], 0x4
	s_load_dword s9, s[2:3], 0xc
	s_load_dwordx2 s[12:13], s[6:7], 0x0
	v_mov_b32_e32 v6, v1
	s_add_u32 s2, s2, 12
	s_waitcnt lgkmcnt(0)
	v_mul_hi_u32 v1, s11, v2
	v_add_u32_e32 v1, v2, v1
	v_lshrrev_b32_e32 v1, s9, v1
	s_addc_u32 s3, s3, 0
	v_mul_lo_u32 v3, v1, s10
	s_add_u32 s6, s6, 8
	v_sub_u32_e32 v3, v2, v3
	s_addc_u32 s7, s7, 0
	s_add_i32 s8, s8, -1
	v_mov_b32_e32 v2, v1
	v_mad_u64_u32 v[6:7], s[10:11], v3, s13, v[6:7]
	v_mad_u64_u32 v[0:1], s[10:11], v3, s12, v[0:1]
	s_cmp_lg_u32 s8, 0
	v_mov_b32_e32 v1, v6
	s_cbranch_scc1 .LBB19_28
; %bb.29:
	v_mov_b32_e32 v14, v1
	s_cbranch_execnz .LBB19_32
.LBB19_30:
	s_load_dwordx4 s[8:11], s[4:5], 0x4
	s_load_dwordx2 s[2:3], s[4:5], 0xc4
	s_cmp_lt_u32 s33, 2
	s_waitcnt lgkmcnt(0)
	v_mul_hi_u32 v0, s9, v4
	v_add_u32_e32 v0, v4, v0
	v_lshrrev_b32_e32 v1, s10, v0
	v_mul_lo_u32 v0, v1, s8
	v_sub_u32_e32 v0, v4, v0
	v_mul_lo_u32 v14, v0, s3
	v_mul_lo_u32 v0, v0, s2
	s_cbranch_scc1 .LBB19_32
; %bb.31:
	s_load_dwordx4 s[8:11], s[4:5], 0x10
	s_load_dwordx2 s[2:3], s[4:5], 0xcc
	s_waitcnt lgkmcnt(0)
	v_mul_hi_u32 v2, s9, v1
	v_add_u32_e32 v2, v1, v2
	v_lshrrev_b32_e32 v2, s10, v2
	v_mul_lo_u32 v2, v2, s8
	v_sub_u32_e32 v2, v1, v2
	v_mad_u64_u32 v[0:1], s[6:7], v2, s2, v[0:1]
	v_mad_u64_u32 v[14:15], s[2:3], v2, s3, v[14:15]
.LBB19_32:
	s_and_b64 vcc, exec, s[0:1]
	v_add_u32_e32 v1, 0x80, v4
	s_cbranch_vccnz .LBB19_39
; %bb.33:
	s_mov_b32 s2, 0
	s_cmp_lg_u32 s33, 0
	v_mov_b32_e32 v12, 0
	v_mov_b32_e32 v2, 0
	s_cbranch_scc0 .LBB19_38
; %bb.34:
	s_waitcnt lgkmcnt(0)
	s_min_u32 s30, s56, 15
	s_add_i32 s30, s30, 1
	s_cmp_eq_u32 s56, 2
	s_cbranch_scc1 .LBB19_40
; %bb.35:
	s_add_u32 s6, s4, 0xc4
	s_addc_u32 s7, s5, 0
	s_and_b32 s2, s30, 28
	s_mov_b32 s3, 0
	v_mov_b32_e32 v2, 0
	s_mov_b64 s[28:29], s[4:5]
	v_mov_b32_e32 v5, v1
	v_mov_b32_e32 v12, 0
.LBB19_36:                              ; =>This Inner Loop Header: Depth=1
	s_load_dwordx8 s[16:23], s[28:29], 0x4
	s_load_dwordx4 s[24:27], s[28:29], 0x24
	s_load_dwordx8 s[8:15], s[6:7], 0x0
	s_add_u32 s28, s28, 48
	s_addc_u32 s29, s29, 0
	s_waitcnt lgkmcnt(0)
	v_mul_hi_u32 v3, s17, v5
	v_add_u32_e32 v3, v5, v3
	v_lshrrev_b32_e32 v3, s18, v3
	v_mul_lo_u32 v6, v3, s16
	v_mul_hi_u32 v7, s20, v3
	v_sub_u32_e32 v5, v5, v6
	v_add_u32_e32 v6, v3, v7
	v_lshrrev_b32_e32 v6, s21, v6
	v_mul_lo_u32 v8, v6, s19
	v_mul_hi_u32 v10, s23, v6
	v_sub_u32_e32 v3, v3, v8
	v_add_u32_e32 v8, v6, v10
	v_mul_lo_u32 v7, v5, s9
	v_mul_lo_u32 v5, v5, s8
	;; [unrolled: 1-line block ×4, first 2 shown]
	v_lshrrev_b32_e32 v8, s24, v8
	v_add3_u32 v2, v5, v2, v3
	v_add3_u32 v3, v7, v12, v10
	v_mul_lo_u32 v5, v8, s22
	v_mul_hi_u32 v7, s26, v8
	v_sub_u32_e32 v5, v6, v5
	v_add_u32_e32 v6, v8, v7
	v_mul_lo_u32 v7, v5, s12
	v_mul_lo_u32 v10, v5, s13
	v_lshrrev_b32_e32 v5, s27, v6
	s_add_i32 s3, s3, 4
	v_mul_lo_u32 v6, v5, s25
	s_add_u32 s6, s6, 32
	v_sub_u32_e32 v6, v8, v6
	s_addc_u32 s7, s7, 0
	v_mul_lo_u32 v8, v6, s14
	v_mul_lo_u32 v6, v6, s15
	s_cmp_lg_u32 s2, s3
	v_add3_u32 v12, v10, v3, v6
	v_add3_u32 v2, v7, v2, v8
	s_cbranch_scc1 .LBB19_36
; %bb.37:
	v_mov_b32_e32 v3, v12
	s_and_b32 s8, s30, 3
	s_cmp_eq_u32 s8, 0
	s_cbranch_scc0 .LBB19_41
.LBB19_38:
	s_cbranch_execz .LBB19_44
	s_branch .LBB19_46
.LBB19_39:
                                        ; implicit-def: $vgpr12
                                        ; implicit-def: $vgpr2
	s_branch .LBB19_44
.LBB19_40:
	s_mov_b32 s3, s2
	v_pk_mov_b32 v[2:3], s[2:3], s[2:3] op_sel:[0,1]
                                        ; implicit-def: $vgpr12
	v_mov_b32_e32 v5, v1
	s_and_b32 s8, s30, 3
	s_cmp_eq_u32 s8, 0
	s_cbranch_scc1 .LBB19_38
.LBB19_41:
	s_lshl_b32 s3, s2, 3
	s_add_u32 s3, s3, s4
	s_addc_u32 s7, 0, s5
	s_add_u32 s6, s3, 0xc4
	s_addc_u32 s7, s7, 0
	s_mul_i32 s2, s2, 12
	s_add_u32 s2, s4, s2
	s_addc_u32 s3, 0, s5
.LBB19_42:                              ; =>This Inner Loop Header: Depth=1
	s_load_dwordx2 s[10:11], s[2:3], 0x4
	s_load_dword s9, s[2:3], 0xc
	s_load_dwordx2 s[12:13], s[6:7], 0x0
	v_mov_b32_e32 v6, v3
	s_add_u32 s2, s2, 12
	s_waitcnt lgkmcnt(0)
	v_mul_hi_u32 v3, s11, v5
	v_add_u32_e32 v3, v5, v3
	v_lshrrev_b32_e32 v3, s9, v3
	s_addc_u32 s3, s3, 0
	v_mul_lo_u32 v7, v3, s10
	s_add_u32 s6, s6, 8
	v_sub_u32_e32 v8, v5, v7
	s_addc_u32 s7, s7, 0
	s_add_i32 s8, s8, -1
	v_mov_b32_e32 v5, v3
	v_mad_u64_u32 v[6:7], s[10:11], v8, s13, v[6:7]
	v_mad_u64_u32 v[2:3], s[10:11], v8, s12, v[2:3]
	s_cmp_lg_u32 s8, 0
	v_mov_b32_e32 v3, v6
	s_cbranch_scc1 .LBB19_42
; %bb.43:
	v_mov_b32_e32 v12, v3
	s_cbranch_execnz .LBB19_46
.LBB19_44:
	s_load_dwordx4 s[8:11], s[4:5], 0x4
	s_load_dwordx2 s[2:3], s[4:5], 0xc4
	s_cmp_lt_u32 s33, 2
	s_waitcnt lgkmcnt(0)
	v_mul_hi_u32 v2, s9, v1
	v_add_u32_e32 v2, v1, v2
	v_lshrrev_b32_e32 v3, s10, v2
	v_mul_lo_u32 v2, v3, s8
	v_sub_u32_e32 v1, v1, v2
	v_mul_lo_u32 v12, v1, s3
	v_mul_lo_u32 v2, v1, s2
	s_cbranch_scc1 .LBB19_46
; %bb.45:
	s_load_dwordx4 s[8:11], s[4:5], 0x10
	s_load_dwordx2 s[2:3], s[4:5], 0xcc
	s_waitcnt lgkmcnt(0)
	v_mul_hi_u32 v1, s9, v3
	v_add_u32_e32 v1, v3, v1
	v_lshrrev_b32_e32 v1, s10, v1
	v_mul_lo_u32 v1, v1, s8
	v_sub_u32_e32 v1, v3, v1
	v_mad_u64_u32 v[2:3], s[6:7], v1, s2, v[2:3]
	v_mad_u64_u32 v[12:13], s[2:3], v1, s3, v[12:13]
.LBB19_46:
	s_and_b64 vcc, exec, s[0:1]
	v_add_u32_e32 v1, 0x100, v4
	s_cbranch_vccnz .LBB19_53
; %bb.47:
	s_mov_b32 s2, 0
	s_cmp_lg_u32 s33, 0
	v_mov_b32_e32 v10, 0
	v_mov_b32_e32 v4, 0
	s_cbranch_scc0 .LBB19_52
; %bb.48:
	s_waitcnt lgkmcnt(0)
	s_min_u32 s30, s56, 15
	s_add_i32 s30, s30, 1
	s_cmp_eq_u32 s56, 2
	s_cbranch_scc1 .LBB19_54
; %bb.49:
	s_add_u32 s6, s4, 0xc4
	s_addc_u32 s7, s5, 0
	s_and_b32 s2, s30, 28
	s_mov_b32 s3, 0
	v_mov_b32_e32 v4, 0
	s_mov_b64 s[28:29], s[4:5]
	v_mov_b32_e32 v3, v1
	v_mov_b32_e32 v10, 0
.LBB19_50:                              ; =>This Inner Loop Header: Depth=1
	s_load_dwordx8 s[16:23], s[28:29], 0x4
	s_load_dwordx4 s[24:27], s[28:29], 0x24
	s_load_dwordx8 s[8:15], s[6:7], 0x0
	s_add_u32 s28, s28, 48
	s_addc_u32 s29, s29, 0
	s_waitcnt lgkmcnt(0)
	v_mul_hi_u32 v5, s17, v3
	v_add_u32_e32 v5, v3, v5
	v_lshrrev_b32_e32 v5, s18, v5
	v_mul_lo_u32 v6, v5, s16
	v_mul_hi_u32 v7, s20, v5
	v_sub_u32_e32 v3, v3, v6
	v_add_u32_e32 v6, v5, v7
	v_lshrrev_b32_e32 v6, s21, v6
	v_mul_lo_u32 v8, v6, s19
	v_mul_hi_u32 v11, s23, v6
	v_sub_u32_e32 v5, v5, v8
	v_add_u32_e32 v8, v6, v11
	v_mul_lo_u32 v7, v3, s9
	v_mul_lo_u32 v3, v3, s8
	;; [unrolled: 1-line block ×4, first 2 shown]
	v_lshrrev_b32_e32 v8, s24, v8
	v_add3_u32 v4, v3, v4, v5
	v_add3_u32 v5, v7, v10, v11
	v_mul_lo_u32 v3, v8, s22
	v_mul_hi_u32 v7, s26, v8
	v_sub_u32_e32 v3, v6, v3
	v_add_u32_e32 v6, v8, v7
	v_mul_lo_u32 v7, v3, s12
	v_mul_lo_u32 v10, v3, s13
	v_lshrrev_b32_e32 v3, s27, v6
	s_add_i32 s3, s3, 4
	v_mul_lo_u32 v6, v3, s25
	s_add_u32 s6, s6, 32
	v_sub_u32_e32 v6, v8, v6
	s_addc_u32 s7, s7, 0
	v_mul_lo_u32 v8, v6, s14
	v_mul_lo_u32 v6, v6, s15
	s_cmp_lg_u32 s2, s3
	v_add3_u32 v10, v10, v5, v6
	v_add3_u32 v4, v7, v4, v8
	s_cbranch_scc1 .LBB19_50
; %bb.51:
	v_mov_b32_e32 v5, v10
	s_and_b32 s8, s30, 3
	s_cmp_eq_u32 s8, 0
	s_cbranch_scc0 .LBB19_55
.LBB19_52:
	s_cbranch_execz .LBB19_58
	s_branch .LBB19_60
.LBB19_53:
                                        ; implicit-def: $vgpr10
                                        ; implicit-def: $vgpr4
	s_branch .LBB19_58
.LBB19_54:
	s_mov_b32 s3, s2
	v_pk_mov_b32 v[4:5], s[2:3], s[2:3] op_sel:[0,1]
                                        ; implicit-def: $vgpr10
	v_mov_b32_e32 v3, v1
	s_and_b32 s8, s30, 3
	s_cmp_eq_u32 s8, 0
	s_cbranch_scc1 .LBB19_52
.LBB19_55:
	s_lshl_b32 s3, s2, 3
	s_add_u32 s3, s3, s4
	s_addc_u32 s7, 0, s5
	s_add_u32 s6, s3, 0xc4
	s_addc_u32 s7, s7, 0
	s_mul_i32 s2, s2, 12
	s_add_u32 s2, s4, s2
	s_addc_u32 s3, 0, s5
.LBB19_56:                              ; =>This Inner Loop Header: Depth=1
	s_load_dwordx2 s[10:11], s[2:3], 0x4
	s_load_dword s9, s[2:3], 0xc
	s_load_dwordx2 s[12:13], s[6:7], 0x0
	v_mov_b32_e32 v6, v5
	s_add_u32 s2, s2, 12
	s_waitcnt lgkmcnt(0)
	v_mul_hi_u32 v5, s11, v3
	v_add_u32_e32 v5, v3, v5
	v_lshrrev_b32_e32 v5, s9, v5
	s_addc_u32 s3, s3, 0
	v_mul_lo_u32 v7, v5, s10
	s_add_u32 s6, s6, 8
	v_sub_u32_e32 v8, v3, v7
	s_addc_u32 s7, s7, 0
	s_add_i32 s8, s8, -1
	v_mov_b32_e32 v3, v5
	v_mad_u64_u32 v[6:7], s[10:11], v8, s13, v[6:7]
	v_mad_u64_u32 v[4:5], s[10:11], v8, s12, v[4:5]
	s_cmp_lg_u32 s8, 0
	v_mov_b32_e32 v5, v6
	s_cbranch_scc1 .LBB19_56
; %bb.57:
	v_mov_b32_e32 v10, v5
	s_cbranch_execnz .LBB19_60
.LBB19_58:
	s_load_dwordx4 s[8:11], s[4:5], 0x4
	s_load_dwordx2 s[2:3], s[4:5], 0xc4
	s_cmp_lt_u32 s33, 2
	s_waitcnt lgkmcnt(0)
	v_mul_hi_u32 v3, s9, v1
	v_add_u32_e32 v3, v1, v3
	v_lshrrev_b32_e32 v3, s10, v3
	v_mul_lo_u32 v4, v3, s8
	v_sub_u32_e32 v1, v1, v4
	v_mul_lo_u32 v10, v1, s3
	v_mul_lo_u32 v4, v1, s2
	s_cbranch_scc1 .LBB19_60
; %bb.59:
	s_load_dwordx4 s[8:11], s[4:5], 0x10
	s_load_dwordx2 s[2:3], s[4:5], 0xcc
	s_waitcnt lgkmcnt(0)
	v_mul_hi_u32 v1, s9, v3
	v_add_u32_e32 v1, v3, v1
	v_lshrrev_b32_e32 v1, s10, v1
	v_mul_lo_u32 v1, v1, s8
	v_sub_u32_e32 v1, v3, v1
	v_mad_u64_u32 v[4:5], s[6:7], v1, s2, v[4:5]
	v_mad_u64_u32 v[10:11], s[2:3], v1, s3, v[10:11]
.LBB19_60:
	s_and_b64 vcc, exec, s[0:1]
	s_cbranch_vccnz .LBB19_67
; %bb.61:
	s_mov_b32 s6, 0
	s_cmp_lg_u32 s33, 0
	v_mov_b32_e32 v8, 0
	v_mov_b32_e32 v6, 0
	s_cbranch_scc0 .LBB19_66
; %bb.62:
	s_waitcnt lgkmcnt(0)
	s_min_u32 s28, s56, 15
	s_add_i32 s28, s28, 1
	s_cmp_eq_u32 s56, 2
	s_cbranch_scc1 .LBB19_68
; %bb.63:
	s_add_u32 s24, s4, 0xc4
	s_addc_u32 s25, s5, 0
	s_and_b32 s6, s28, 28
	s_mov_b32 s7, 0
	v_mov_b32_e32 v6, 0
	s_mov_b64 s[26:27], s[4:5]
	v_mov_b32_e32 v1, v9
	v_mov_b32_e32 v8, 0
.LBB19_64:                              ; =>This Inner Loop Header: Depth=1
	s_load_dwordx8 s[16:23], s[26:27], 0x4
	s_load_dwordx4 s[0:3], s[26:27], 0x24
	s_load_dwordx8 s[8:15], s[24:25], 0x0
	s_add_u32 s26, s26, 48
	s_addc_u32 s27, s27, 0
	s_waitcnt lgkmcnt(0)
	v_mul_hi_u32 v3, s17, v1
	v_add_u32_e32 v3, v1, v3
	v_lshrrev_b32_e32 v3, s18, v3
	v_mul_lo_u32 v5, v3, s16
	v_mul_hi_u32 v7, s20, v3
	v_sub_u32_e32 v1, v1, v5
	v_add_u32_e32 v5, v3, v7
	v_lshrrev_b32_e32 v5, s21, v5
	v_mul_lo_u32 v11, v5, s19
	v_mul_hi_u32 v13, s23, v5
	v_sub_u32_e32 v3, v3, v11
	v_add_u32_e32 v11, v5, v13
	v_mul_lo_u32 v7, v1, s9
	v_mul_lo_u32 v1, v1, s8
	;; [unrolled: 1-line block ×4, first 2 shown]
	v_lshrrev_b32_e32 v11, s0, v11
	v_add3_u32 v3, v1, v6, v3
	v_add3_u32 v6, v7, v8, v13
	v_mul_lo_u32 v1, v11, s22
	v_mul_hi_u32 v7, s2, v11
	v_sub_u32_e32 v1, v5, v1
	v_add_u32_e32 v5, v11, v7
	v_mul_lo_u32 v7, v1, s12
	v_mul_lo_u32 v8, v1, s13
	v_lshrrev_b32_e32 v1, s3, v5
	s_add_i32 s7, s7, 4
	v_mul_lo_u32 v5, v1, s1
	s_add_u32 s24, s24, 32
	v_sub_u32_e32 v5, v11, v5
	s_addc_u32 s25, s25, 0
	v_mul_lo_u32 v11, v5, s14
	v_mul_lo_u32 v5, v5, s15
	s_cmp_lg_u32 s6, s7
	v_add3_u32 v8, v8, v6, v5
	v_add3_u32 v6, v7, v3, v11
	s_cbranch_scc1 .LBB19_64
; %bb.65:
	v_mov_b32_e32 v7, v8
	s_and_b32 s7, s28, 3
	s_cmp_eq_u32 s7, 0
	s_cbranch_scc0 .LBB19_69
.LBB19_66:
	s_cbranch_execz .LBB19_72
	s_branch .LBB19_74
.LBB19_67:
                                        ; implicit-def: $vgpr8
                                        ; implicit-def: $vgpr6
	s_branch .LBB19_72
.LBB19_68:
	s_mov_b32 s7, s6
	v_pk_mov_b32 v[6:7], s[6:7], s[6:7] op_sel:[0,1]
                                        ; implicit-def: $vgpr8
	v_mov_b32_e32 v1, v9
	s_and_b32 s7, s28, 3
	s_cmp_eq_u32 s7, 0
	s_cbranch_scc1 .LBB19_66
.LBB19_69:
	s_lshl_b32 s0, s6, 3
	s_add_u32 s0, s0, s4
	s_addc_u32 s1, 0, s5
	s_add_u32 s0, s0, 0xc4
	s_addc_u32 s1, s1, 0
	s_mul_i32 s2, s6, 12
	s_add_u32 s2, s4, s2
	s_addc_u32 s3, 0, s5
.LBB19_70:                              ; =>This Inner Loop Header: Depth=1
	s_load_dwordx2 s[8:9], s[2:3], 0x4
	s_load_dword s6, s[2:3], 0xc
	s_load_dwordx2 s[10:11], s[0:1], 0x0
	s_add_u32 s2, s2, 12
	s_addc_u32 s3, s3, 0
	s_waitcnt lgkmcnt(0)
	v_mul_hi_u32 v3, s9, v1
	v_add_u32_e32 v3, v1, v3
	v_lshrrev_b32_e32 v3, s6, v3
	v_mul_lo_u32 v5, v3, s8
	v_mov_b32_e32 v8, v7
	s_add_u32 s0, s0, 8
	v_sub_u32_e32 v5, v1, v5
	s_addc_u32 s1, s1, 0
	s_add_i32 s7, s7, -1
	v_mad_u64_u32 v[16:17], s[8:9], v5, s11, v[8:9]
	v_mad_u64_u32 v[6:7], s[8:9], v5, s10, v[6:7]
	s_cmp_lg_u32 s7, 0
	v_mov_b32_e32 v1, v3
	v_mov_b32_e32 v7, v16
	s_cbranch_scc1 .LBB19_70
; %bb.71:
	v_mov_b32_e32 v8, v7
	s_cbranch_execnz .LBB19_74
.LBB19_72:
	s_load_dwordx4 s[0:3], s[4:5], 0x4
	s_load_dwordx2 s[6:7], s[4:5], 0xc4
	s_cmp_lt_u32 s33, 2
	s_waitcnt lgkmcnt(0)
	v_mul_hi_u32 v1, s1, v9
	v_add_u32_e32 v1, v9, v1
	v_lshrrev_b32_e32 v1, s2, v1
	v_mul_lo_u32 v3, v1, s0
	v_sub_u32_e32 v3, v9, v3
	v_mul_lo_u32 v8, v3, s7
	v_mul_lo_u32 v6, v3, s6
	s_cbranch_scc1 .LBB19_74
; %bb.73:
	s_load_dwordx4 s[0:3], s[4:5], 0x10
	s_load_dwordx2 s[6:7], s[4:5], 0xcc
	s_waitcnt lgkmcnt(0)
	v_mul_hi_u32 v3, s1, v1
	v_add_u32_e32 v3, v1, v3
	v_lshrrev_b32_e32 v3, s2, v3
	v_mul_lo_u32 v3, v3, s0
	v_sub_u32_e32 v1, v1, v3
	v_mad_u64_u32 v[6:7], s[0:1], v1, s6, v[6:7]
	v_mad_u64_u32 v[8:9], s[0:1], v1, s7, v[8:9]
.LBB19_74:
	s_load_dwordx4 s[8:11], s[4:5], 0x148
	s_mov_b32 s0, 0x40a00000
	s_waitcnt lgkmcnt(0)
	global_load_dword v1, v14, s[10:11]
	s_waitcnt vmcnt(0)
	v_cmp_gt_f32_e32 vcc, 0, v1
	v_cndmask_b32_e64 v3, v1, -v1, vcc
	v_cmp_ge_f32_e32 vcc, s0, v3
                                        ; implicit-def: $vgpr1
	s_and_saveexec_b64 s[0:1], vcc
	s_xor_b64 s[0:1], exec, s[0:1]
	s_cbranch_execz .LBB19_80
; %bb.75:
	s_mov_b32 s2, 0x3727c5ac
	v_cmp_ngt_f32_e32 vcc, s2, v3
	v_mul_f32_e32 v14, v3, v3
                                        ; implicit-def: $vgpr1
	s_and_saveexec_b64 s[2:3], vcc
	s_xor_b64 s[2:3], exec, s[2:3]
	s_cbranch_execz .LBB19_77
; %bb.76:
	v_mov_b32_e32 v1, 0x43f9c815
	v_fmac_f32_e32 v1, 0, v14
	v_mov_b32_e32 v3, 0x4829b65a
	v_fmac_f32_e32 v3, v14, v1
	;; [unrolled: 2-line block ×4, first 2 shown]
	s_mov_b32 s4, 0xcf8ee29d
	v_mul_f32_e32 v16, 0, v14
	v_mul_f32_e32 v17, v14, v3
	s_mov_b32 s5, 0x53f5f59c
	v_pk_add_f32 v[16:17], v[16:17], s[4:5]
	s_mov_b32 s4, 0x53e3ba8e
	s_mov_b32 s5, 0x578d3514
	v_pk_fma_f32 v[16:17], v[14:15], v[16:17], s[4:5] op_sel_hi:[0,1,1]
	s_mov_b32 s4, 0xd762b0a7
	s_mov_b32 s5, 0x5ae20a0c
	v_pk_fma_f32 v[16:17], v[14:15], v[16:17], s[4:5] op_sel_hi:[0,1,1]
	;; [unrolled: 3-line block ×3, first 2 shown]
	s_mov_b32 s4, 0xc0b90fdc
	s_mov_b32 s5, 0xc1f3c525
	v_pk_add_f32 v[14:15], v[14:15], s[4:5] op_sel_hi:[0,1]
	v_mul_f32_e32 v1, v14, v15
	v_mul_f32_e32 v1, v1, v16
	v_div_scale_f32 v3, s[4:5], v17, v17, v1
	v_rcp_f32_e32 v5, v3
                                        ; implicit-def: $vgpr14
	v_fma_f32 v7, -v3, v5, 1.0
	v_fmac_f32_e32 v5, v7, v5
	v_div_scale_f32 v7, vcc, v1, v17, v1
	v_mul_f32_e32 v9, v7, v5
	v_fma_f32 v11, -v3, v9, v7
	v_fmac_f32_e32 v9, v11, v5
	v_fma_f32 v3, -v3, v9, v7
	v_div_fmas_f32 v3, v3, v5, v9
	v_div_fixup_f32 v1, v3, v17, v1
.LBB19_77:
	s_andn2_saveexec_b64 s[2:3], s[2:3]
; %bb.78:
	s_mov_b32 s4, 0xbe800000
	v_fma_f32 v1, v14, s4, 1.0
; %bb.79:
	s_or_b64 exec, exec, s[2:3]
                                        ; implicit-def: $vgpr3
.LBB19_80:
	s_andn2_saveexec_b64 s[6:7], s[0:1]
	s_cbranch_execz .LBB19_90
; %bb.81:
	v_add_f32_e32 v1, 0xbf490fdb, v3
	v_and_b32_e32 v5, 0x7fffffff, v1
	s_brev_b32 s0, 18
	v_cmp_nlt_f32_e64 s[12:13], |v1|, s0
	v_lshrrev_b32_e32 v14, 23, v5
                                        ; implicit-def: $vgpr7
                                        ; implicit-def: $vgpr9
	s_and_saveexec_b64 s[0:1], s[12:13]
	s_xor_b64 s[14:15], exec, s[0:1]
	s_cbranch_execz .LBB19_83
; %bb.82:
	v_add_u32_e32 v7, 0xffffff88, v14
	v_not_b32_e32 v9, 63
	v_cmp_lt_u32_e32 vcc, 63, v7
	v_cndmask_b32_e32 v9, 0, v9, vcc
	v_add_u32_e32 v7, v9, v7
	v_not_b32_e32 v9, 31
	v_cmp_lt_u32_e64 s[0:1], 31, v7
	v_cndmask_b32_e64 v11, 0, v9, s[0:1]
	v_add_u32_e32 v7, v11, v7
	v_cmp_lt_u32_e64 s[2:3], 31, v7
	v_cndmask_b32_e64 v9, 0, v9, s[2:3]
	v_add_u32_e32 v7, v9, v7
	v_and_b32_e32 v9, 0x7fffff, v5
	v_or_b32_e32 v9, 0x800000, v9
	s_mov_b32 s4, 0xfe5163ab
	v_mad_u64_u32 v[18:19], s[4:5], v9, s4, 0
	v_mov_b32_e32 v17, 0
	v_mov_b32_e32 v16, v19
	s_mov_b32 s4, 0x3c439041
	v_mad_u64_u32 v[20:21], s[4:5], v9, s4, v[16:17]
	v_mov_b32_e32 v16, v21
	s_mov_b32 s4, 0xdb629599
	v_mad_u64_u32 v[22:23], s[4:5], v9, s4, v[16:17]
	;; [unrolled: 3-line block ×6, first 2 shown]
	v_cndmask_b32_e32 v11, v28, v24, vcc
	v_cndmask_b32_e32 v9, v16, v26, vcc
	;; [unrolled: 1-line block ×3, first 2 shown]
	v_cndmask_b32_e64 v13, v9, v11, s[0:1]
	v_cndmask_b32_e64 v9, v15, v9, s[0:1]
	v_cndmask_b32_e32 v15, v26, v22, vcc
	v_cndmask_b32_e64 v11, v11, v15, s[0:1]
	v_cndmask_b32_e64 v9, v9, v13, s[2:3]
	;; [unrolled: 1-line block ×3, first 2 shown]
	v_sub_u32_e32 v16, 32, v7
	v_alignbit_b32 v17, v9, v13, v16
	v_cmp_eq_u32_e64 s[4:5], 0, v7
	v_cndmask_b32_e64 v7, v17, v9, s[4:5]
	v_cndmask_b32_e32 v9, v24, v20, vcc
	v_cndmask_b32_e64 v15, v15, v9, s[0:1]
	v_cndmask_b32_e64 v11, v11, v15, s[2:3]
	v_alignbit_b32 v17, v13, v11, v16
	v_cndmask_b32_e32 v18, v22, v18, vcc
	v_cndmask_b32_e64 v13, v17, v13, s[4:5]
	v_bfe_u32 v20, v7, 29, 1
	v_cndmask_b32_e64 v9, v9, v18, s[0:1]
	v_alignbit_b32 v17, v7, v13, 30
	v_sub_u32_e32 v21, 0, v20
	v_cndmask_b32_e64 v9, v15, v9, s[2:3]
	v_xor_b32_e32 v23, v17, v21
	v_alignbit_b32 v15, v11, v9, v16
	v_cndmask_b32_e64 v11, v15, v11, s[4:5]
	v_ffbh_u32_e32 v15, v23
	v_add_u32_e32 v15, 1, v15
	v_cmp_ne_u32_e32 vcc, v17, v21
	v_alignbit_b32 v13, v13, v11, 30
	v_cndmask_b32_e32 v15, 33, v15, vcc
	v_alignbit_b32 v9, v11, v9, 30
	v_xor_b32_e32 v13, v13, v21
	v_sub_u32_e32 v16, 32, v15
	v_xor_b32_e32 v9, v9, v21
	v_alignbit_b32 v17, v23, v13, v16
	v_alignbit_b32 v9, v13, v9, v16
	;; [unrolled: 1-line block ×3, first 2 shown]
	v_ffbh_u32_e32 v13, v11
	v_min_u32_e32 v13, 32, v13
	v_lshrrev_b32_e32 v19, 29, v7
	v_sub_u32_e32 v16, 31, v13
	v_alignbit_b32 v9, v11, v9, v16
	v_lshlrev_b32_e32 v11, 31, v19
	v_or_b32_e32 v16, 0x33800000, v11
	v_add_lshl_u32 v13, v13, v15, 23
	v_lshrrev_b32_e32 v9, 9, v9
	v_sub_u32_e32 v13, v16, v13
	v_or_b32_e32 v9, v13, v9
	v_alignbit_b32 v13, v15, v17, 9
	v_or_b32_e32 v11, v13, v11
	v_xor_b32_e32 v11, 1.0, v11
	s_mov_b32 s0, 0x3fc90fda
	v_mul_f32_e32 v13, 0x3fc90fda, v11
	v_fma_f32 v15, v11, s0, -v13
	v_fmac_f32_e32 v15, 0x33a22168, v11
	v_fmac_f32_e32 v15, 0x3fc90fda, v9
	v_lshrrev_b32_e32 v7, 30, v7
	v_add_f32_e32 v9, v13, v15
	v_add_u32_e32 v7, v20, v7
	s_andn2_saveexec_b64 s[0:1], s[14:15]
	s_branch .LBB19_84
.LBB19_83:
	s_andn2_saveexec_b64 s[0:1], s[14:15]
.LBB19_84:
	s_mov_b32 s2, 0x3f22f983
	v_mul_f32_e64 v7, |v1|, s2
	v_rndne_f32_e32 v11, v7
	s_mov_b32 s2, 0xbfc90fda
	v_cvt_i32_f32_e32 v7, v11
	v_fma_f32 v9, v11, s2, |v1|
	v_fmac_f32_e32 v9, 0xb3a22168, v11
	v_fmac_f32_e32 v9, 0xa7c234c4, v11
; %bb.85:
	s_or_b64 exec, exec, s[0:1]
                                        ; implicit-def: $vgpr11
                                        ; implicit-def: $vgpr13
	s_and_saveexec_b64 s[0:1], s[12:13]
	s_xor_b64 s[12:13], exec, s[0:1]
	s_cbranch_execz .LBB19_87
; %bb.86:
	v_add_u32_e32 v11, 0xffffff88, v14
	v_not_b32_e32 v13, 63
	v_cmp_lt_u32_e32 vcc, 63, v11
	v_cndmask_b32_e32 v13, 0, v13, vcc
	v_add_u32_e32 v11, v13, v11
	v_not_b32_e32 v13, 31
	v_cmp_lt_u32_e64 s[0:1], 31, v11
	v_cndmask_b32_e64 v14, 0, v13, s[0:1]
	v_add_u32_e32 v11, v14, v11
	v_cmp_lt_u32_e64 s[2:3], 31, v11
	v_cndmask_b32_e64 v13, 0, v13, s[2:3]
	v_add_u32_e32 v11, v13, v11
	v_and_b32_e32 v13, 0x7fffff, v5
	v_or_b32_e32 v13, 0x800000, v13
	s_mov_b32 s4, 0xfe5163ab
	v_mad_u64_u32 v[16:17], s[4:5], v13, s4, 0
	v_mov_b32_e32 v15, 0
	v_mov_b32_e32 v14, v17
	s_mov_b32 s4, 0x3c439041
	v_mad_u64_u32 v[18:19], s[4:5], v13, s4, v[14:15]
	v_mov_b32_e32 v14, v19
	s_mov_b32 s4, 0xdb629599
	v_mad_u64_u32 v[20:21], s[4:5], v13, s4, v[14:15]
	;; [unrolled: 3-line block ×6, first 2 shown]
	v_cndmask_b32_e32 v17, v26, v22, vcc
	v_cndmask_b32_e32 v13, v14, v24, vcc
	;; [unrolled: 1-line block ×3, first 2 shown]
	v_cndmask_b32_e64 v14, v13, v17, s[0:1]
	v_cndmask_b32_e64 v13, v15, v13, s[0:1]
	v_cndmask_b32_e32 v15, v24, v20, vcc
	v_cndmask_b32_e64 v17, v17, v15, s[0:1]
	v_cndmask_b32_e64 v13, v13, v14, s[2:3]
	;; [unrolled: 1-line block ×3, first 2 shown]
	v_sub_u32_e32 v19, 32, v11
	v_alignbit_b32 v21, v13, v14, v19
	v_cmp_eq_u32_e64 s[4:5], 0, v11
	v_cndmask_b32_e64 v11, v21, v13, s[4:5]
	v_cndmask_b32_e32 v13, v22, v18, vcc
	v_cndmask_b32_e64 v15, v15, v13, s[0:1]
	v_cndmask_b32_e64 v17, v17, v15, s[2:3]
	v_alignbit_b32 v18, v14, v17, v19
	v_cndmask_b32_e64 v14, v18, v14, s[4:5]
	v_bfe_u32 v22, v11, 29, 1
	v_cndmask_b32_e32 v16, v20, v16, vcc
	v_alignbit_b32 v18, v11, v14, 30
	v_sub_u32_e32 v23, 0, v22
	v_cndmask_b32_e64 v13, v13, v16, s[0:1]
	v_xor_b32_e32 v24, v18, v23
	v_cndmask_b32_e64 v13, v15, v13, s[2:3]
	v_alignbit_b32 v15, v17, v13, v19
	v_ffbh_u32_e32 v16, v24
	v_cndmask_b32_e64 v15, v15, v17, s[4:5]
	v_add_u32_e32 v16, 1, v16
	v_cmp_ne_u32_e32 vcc, v18, v23
	v_alignbit_b32 v14, v14, v15, 30
	v_cndmask_b32_e32 v16, 33, v16, vcc
	v_alignbit_b32 v13, v15, v13, 30
	v_xor_b32_e32 v14, v14, v23
	v_sub_u32_e32 v17, 32, v16
	v_xor_b32_e32 v13, v13, v23
	v_alignbit_b32 v18, v24, v14, v17
	v_alignbit_b32 v13, v14, v13, v17
	;; [unrolled: 1-line block ×3, first 2 shown]
	v_ffbh_u32_e32 v15, v14
	v_min_u32_e32 v15, 32, v15
	v_lshrrev_b32_e32 v21, 29, v11
	v_sub_u32_e32 v17, 31, v15
	v_alignbit_b32 v13, v14, v13, v17
	v_lshlrev_b32_e32 v14, 31, v21
	v_or_b32_e32 v17, 0x33800000, v14
	v_add_lshl_u32 v15, v15, v16, 23
	v_lshrrev_b32_e32 v13, 9, v13
	v_sub_u32_e32 v15, v17, v15
	v_or_b32_e32 v13, v15, v13
	v_alignbit_b32 v15, v16, v18, 9
	v_or_b32_e32 v14, v15, v14
	v_xor_b32_e32 v14, 1.0, v14
	s_mov_b32 s0, 0x3fc90fda
	v_mul_f32_e32 v15, 0x3fc90fda, v14
	v_fma_f32 v16, v14, s0, -v15
	v_fmac_f32_e32 v16, 0x33a22168, v14
	v_fmac_f32_e32 v16, 0x3fc90fda, v13
	v_lshrrev_b32_e32 v11, 30, v11
	v_add_f32_e32 v13, v15, v16
	v_add_u32_e32 v11, v22, v11
	s_andn2_saveexec_b64 s[0:1], s[12:13]
	s_cbranch_execnz .LBB19_88
	s_branch .LBB19_89
.LBB19_87:
	s_andn2_saveexec_b64 s[0:1], s[12:13]
.LBB19_88:
	s_mov_b32 s2, 0x3f22f983
	v_mul_f32_e64 v11, |v1|, s2
	v_rndne_f32_e32 v14, v11
	s_mov_b32 s2, 0xbfc90fda
	v_cvt_i32_f32_e32 v11, v14
	v_fma_f32 v13, v14, s2, |v1|
	v_fmac_f32_e32 v13, 0xb3a22168, v14
	v_fmac_f32_e32 v13, 0xa7c234c4, v14
.LBB19_89:
	s_or_b64 exec, exec, s[0:1]
	v_mul_f32_e32 v14, v3, v3
	s_mov_b32 s2, 0x41c80000
	v_div_scale_f32 v15, s[0:1], v14, v14, s2
	v_rcp_f32_e32 v16, v15
	v_mov_b32_e32 v23, 0xbf000004
	s_mov_b32 s4, 0xc0a00000
	v_fma_f32 v17, -v15, v16, 1.0
	v_fmac_f32_e32 v16, v17, v16
	v_div_scale_f32 v17, vcc, s2, v14, s2
	v_mul_f32_e32 v18, v17, v16
	v_fma_f32 v19, -v15, v18, v17
	v_fmac_f32_e32 v18, v19, v16
	v_fma_f32 v15, -v15, v18, v17
	v_div_fmas_f32 v15, v15, v16, v18
	v_div_fixup_f32 v14, v15, v14, s2
	v_mov_b32_e32 v15, 0x3a50e985
	v_fmac_f32_e32 v15, 0, v14
	v_mov_b32_e32 v16, 0x3da9a586
	v_fmac_f32_e32 v16, v14, v15
	;; [unrolled: 2-line block ×12, first 2 shown]
	v_fma_f32 v15, v14, v17, 1.0
	v_mov_b32_e32 v17, 0xbc3a3a12
	v_fmac_f32_e32 v17, 0, v14
	v_mov_b32_e32 v18, 0xbfa429da
	v_fmac_f32_e32 v18, v14, v17
	;; [unrolled: 2-line block ×9, first 2 shown]
	v_mov_b32_e32 v19, 0x44561b86
	v_fma_f32 v16, v14, v16, 1.0
	v_fmac_f32_e32 v19, v14, v17
	v_mov_b32_e32 v17, 0x4572a66e
	v_div_scale_f32 v20, s[0:1], v15, v15, v16
	v_fmac_f32_e32 v17, v14, v19
	v_mov_b32_e32 v19, 0x45e243be
	v_rcp_f32_e32 v21, v20
	v_fmac_f32_e32 v19, v14, v17
	v_mov_b32_e32 v17, 0x45b955d1
	v_fmac_f32_e32 v17, v14, v19
	v_mov_b32_e32 v19, 0x4500e17e
	;; [unrolled: 2-line block ×3, first 2 shown]
	v_fmac_f32_e32 v17, v14, v19
	v_fma_f32 v14, -v20, v21, 1.0
	v_fmac_f32_e32 v21, v14, v21
	v_div_scale_f32 v14, vcc, v16, v15, v16
	v_mul_f32_e32 v19, v14, v21
	v_fma_f32 v22, -v20, v19, v14
	v_fmac_f32_e32 v19, v22, v21
	v_fma_f32 v14, -v20, v19, v14
	v_div_fmas_f32 v14, v14, v21, v19
	v_div_fixup_f32 v14, v14, v15, v16
	v_mul_f32_e32 v15, v9, v9
	v_mov_b32_e32 v21, 0xbab64f3b
	v_mov_b32_e32 v19, 0x3c0881c4
	v_fmac_f32_e32 v21, 0x37d75334, v15
	v_mov_b32_e32 v22, 0x3d2aabf7
	v_fmac_f32_e32 v19, 0xb94c1982, v15
	v_mov_b32_e32 v20, 0xbe2aaa9d
	v_fma_f32 v21, v15, v21, v22
	v_fma_f32 v19, v15, v19, v20
	;; [unrolled: 1-line block ×3, first 2 shown]
	v_mul_f32_e32 v19, v15, v19
	v_fma_f32 v15, v15, v21, 1.0
	v_and_b32_e32 v21, 1, v7
	v_fmac_f32_e32 v9, v9, v19
	v_cmp_eq_u32_e32 vcc, 0, v21
	v_lshlrev_b32_e32 v7, 30, v7
	v_cndmask_b32_e64 v9, -v9, v15, vcc
	v_and_b32_e32 v7, 0x80000000, v7
	v_xor_b32_e32 v7, v7, v9
	v_div_scale_f32 v9, s[0:1], v3, v3, s4
	v_rcp_f32_e32 v15, v9
	s_movk_i32 s2, 0x1f8
	v_cmp_class_f32_e64 s[0:1], v1, s2
	v_mov_b32_e32 v16, 0x3c0881c4
	v_fma_f32 v24, -v9, v15, 1.0
	v_fmac_f32_e32 v15, v24, v15
	v_div_scale_f32 v24, vcc, s4, v3, s4
	v_mul_f32_e32 v25, v24, v15
	v_fma_f32 v26, -v9, v25, v24
	v_fmac_f32_e32 v25, v26, v15
	v_fma_f32 v9, -v9, v25, v24
	v_div_scale_f32 v24, s[2:3], v17, v17, v18
	v_rcp_f32_e32 v26, v24
	v_div_fmas_f32 v9, v9, v15, v25
	v_div_fixup_f32 v9, v9, v3, s4
	v_mov_b32_e32 v19, 0xbab64f3b
	v_fma_f32 v15, -v24, v26, 1.0
	v_fmac_f32_e32 v26, v15, v26
	v_div_scale_f32 v15, vcc, v18, v17, v18
	v_mul_f32_e32 v25, v15, v26
	v_fma_f32 v27, -v24, v25, v15
	v_fmac_f32_e32 v25, v27, v26
	v_fma_f32 v15, -v24, v25, v15
	v_div_fmas_f32 v15, v15, v26, v25
	v_div_fixup_f32 v15, v15, v17, v18
	v_mul_f32_e32 v9, v9, v15
	v_mul_f32_e32 v15, v13, v13
	v_fmac_f32_e32 v16, 0xb94c1982, v15
	v_fmac_f32_e32 v20, v15, v16
	;; [unrolled: 1-line block ×3, first 2 shown]
	v_mul_f32_e32 v16, v15, v20
	v_fmac_f32_e32 v22, v15, v19
	v_fmac_f32_e32 v13, v13, v16
	;; [unrolled: 1-line block ×3, first 2 shown]
	v_and_b32_e32 v16, 1, v11
	v_lshlrev_b32_e32 v11, 30, v11
	v_fma_f32 v15, v15, v23, 1.0
	v_cmp_eq_u32_e32 vcc, 0, v16
	v_and_b32_e32 v11, 0x80000000, v11
	v_xor_b32_e32 v1, v5, v1
	v_cndmask_b32_e32 v13, v15, v13, vcc
	v_xor_b32_e32 v1, v1, v11
	v_mov_b32_e32 v21, 0x7fc00000
	v_xor_b32_e32 v1, v1, v13
	v_cndmask_b32_e64 v7, v21, v7, s[0:1]
	v_cndmask_b32_e64 v1, v21, v1, s[0:1]
	s_mov_b32 s0, 0xf800000
	v_mul_f32_e32 v5, 0x4f800000, v3
	v_cmp_gt_f32_e32 vcc, s0, v3
	v_cndmask_b32_e32 v3, v3, v5, vcc
	v_sqrt_f32_e32 v5, v3
	v_mul_f32_e32 v1, v9, v1
	v_fmac_f32_e32 v1, v14, v7
	v_mul_f32_e32 v1, 0x3f4c422a, v1
	v_add_u32_e32 v7, -1, v5
	v_fma_f32 v9, -v7, v5, v3
	v_cmp_ge_f32_e64 s[0:1], 0, v9
	v_add_u32_e32 v9, 1, v5
	v_cndmask_b32_e64 v7, v5, v7, s[0:1]
	v_fma_f32 v5, -v9, v5, v3
	v_cmp_lt_f32_e64 s[0:1], 0, v5
	v_cndmask_b32_e64 v5, v7, v9, s[0:1]
	v_mul_f32_e32 v7, 0x37800000, v5
	v_cndmask_b32_e32 v5, v5, v7, vcc
	v_mov_b32_e32 v7, 0x260
	v_cmp_class_f32_e32 vcc, v3, v7
	v_cndmask_b32_e32 v3, v5, v3, vcc
	v_div_scale_f32 v5, s[0:1], v3, v3, v1
	v_rcp_f32_e32 v7, v5
	v_fma_f32 v9, -v5, v7, 1.0
	v_fmac_f32_e32 v7, v9, v7
	v_div_scale_f32 v9, vcc, v1, v3, v1
	v_mul_f32_e32 v11, v9, v7
	v_fma_f32 v13, -v5, v11, v9
	v_fmac_f32_e32 v11, v13, v7
	v_fma_f32 v5, -v5, v11, v9
	v_div_fmas_f32 v5, v5, v7, v11
	v_div_fixup_f32 v1, v5, v3, v1
.LBB19_90:
	s_or_b64 exec, exec, s[6:7]
	global_load_dword v3, v12, s[10:11]
	s_mov_b32 s0, 0x40a00000
	s_waitcnt vmcnt(0)
	v_cmp_gt_f32_e32 vcc, 0, v3
	v_cndmask_b32_e64 v5, v3, -v3, vcc
	v_cmp_ge_f32_e32 vcc, s0, v5
                                        ; implicit-def: $vgpr3
	s_and_saveexec_b64 s[0:1], vcc
	s_xor_b64 s[0:1], exec, s[0:1]
	s_cbranch_execz .LBB19_96
; %bb.91:
	s_mov_b32 s2, 0x3727c5ac
	v_cmp_ngt_f32_e32 vcc, s2, v5
	v_mul_f32_e32 v12, v5, v5
                                        ; implicit-def: $vgpr3
	s_and_saveexec_b64 s[2:3], vcc
	s_xor_b64 s[2:3], exec, s[2:3]
	s_cbranch_execz .LBB19_93
; %bb.92:
	v_mov_b32_e32 v3, 0x43f9c815
	v_fmac_f32_e32 v3, 0, v12
	v_mov_b32_e32 v5, 0x4829b65a
	v_fmac_f32_e32 v5, v12, v3
	;; [unrolled: 2-line block ×4, first 2 shown]
	s_mov_b32 s4, 0xcf8ee29d
	v_mul_f32_e32 v14, 0, v12
	v_mul_f32_e32 v15, v12, v5
	s_mov_b32 s5, 0x53f5f59c
	v_pk_add_f32 v[14:15], v[14:15], s[4:5]
	s_mov_b32 s4, 0x53e3ba8e
	s_mov_b32 s5, 0x578d3514
	v_pk_fma_f32 v[14:15], v[12:13], v[14:15], s[4:5] op_sel_hi:[0,1,1]
	s_mov_b32 s4, 0xd762b0a7
	s_mov_b32 s5, 0x5ae20a0c
	v_pk_fma_f32 v[14:15], v[12:13], v[14:15], s[4:5] op_sel_hi:[0,1,1]
	;; [unrolled: 3-line block ×3, first 2 shown]
	s_mov_b32 s4, 0xc0b90fdc
	s_mov_b32 s5, 0xc1f3c525
	v_pk_add_f32 v[12:13], v[12:13], s[4:5] op_sel_hi:[0,1]
	v_mul_f32_e32 v3, v12, v13
	v_mul_f32_e32 v3, v3, v14
	v_div_scale_f32 v5, s[4:5], v15, v15, v3
	v_rcp_f32_e32 v7, v5
	v_fma_f32 v9, -v5, v7, 1.0
	v_fmac_f32_e32 v7, v9, v7
	v_div_scale_f32 v9, vcc, v3, v15, v3
	v_mul_f32_e32 v11, v9, v7
	v_fma_f32 v12, -v5, v11, v9
	v_fmac_f32_e32 v11, v12, v7
	v_fma_f32 v5, -v5, v11, v9
	v_div_fmas_f32 v5, v5, v7, v11
	v_div_fixup_f32 v3, v5, v15, v3
                                        ; implicit-def: $vgpr12
.LBB19_93:
	s_andn2_saveexec_b64 s[2:3], s[2:3]
; %bb.94:
	s_mov_b32 s4, 0xbe800000
	v_fma_f32 v3, v12, s4, 1.0
; %bb.95:
	s_or_b64 exec, exec, s[2:3]
                                        ; implicit-def: $vgpr5
.LBB19_96:
	s_andn2_saveexec_b64 s[6:7], s[0:1]
	s_cbranch_execz .LBB19_106
; %bb.97:
	v_add_f32_e32 v3, 0xbf490fdb, v5
	v_and_b32_e32 v7, 0x7fffffff, v3
	s_brev_b32 s0, 18
	v_cmp_nlt_f32_e64 s[12:13], |v3|, s0
	v_lshrrev_b32_e32 v14, 23, v7
                                        ; implicit-def: $vgpr9
                                        ; implicit-def: $vgpr11
	s_and_saveexec_b64 s[0:1], s[12:13]
	s_xor_b64 s[14:15], exec, s[0:1]
	s_cbranch_execz .LBB19_99
; %bb.98:
	v_add_u32_e32 v9, 0xffffff88, v14
	v_not_b32_e32 v11, 63
	v_cmp_lt_u32_e32 vcc, 63, v9
	v_cndmask_b32_e32 v11, 0, v11, vcc
	v_add_u32_e32 v9, v11, v9
	v_not_b32_e32 v11, 31
	v_cmp_lt_u32_e64 s[0:1], 31, v9
	v_cndmask_b32_e64 v12, 0, v11, s[0:1]
	v_add_u32_e32 v9, v12, v9
	v_cmp_lt_u32_e64 s[2:3], 31, v9
	v_cndmask_b32_e64 v11, 0, v11, s[2:3]
	v_add_u32_e32 v9, v11, v9
	v_and_b32_e32 v11, 0x7fffff, v7
	v_or_b32_e32 v11, 0x800000, v11
	s_mov_b32 s4, 0xfe5163ab
	v_mad_u64_u32 v[16:17], s[4:5], v11, s4, 0
	v_mov_b32_e32 v13, 0
	v_mov_b32_e32 v12, v17
	s_mov_b32 s4, 0x3c439041
	v_mad_u64_u32 v[18:19], s[4:5], v11, s4, v[12:13]
	v_mov_b32_e32 v12, v19
	s_mov_b32 s4, 0xdb629599
	v_mad_u64_u32 v[20:21], s[4:5], v11, s4, v[12:13]
	;; [unrolled: 3-line block ×6, first 2 shown]
	v_cndmask_b32_e32 v15, v26, v22, vcc
	v_cndmask_b32_e32 v11, v12, v24, vcc
	;; [unrolled: 1-line block ×3, first 2 shown]
	v_cndmask_b32_e64 v12, v11, v15, s[0:1]
	v_cndmask_b32_e64 v11, v13, v11, s[0:1]
	v_cndmask_b32_e32 v13, v24, v20, vcc
	v_cndmask_b32_e64 v15, v15, v13, s[0:1]
	v_cndmask_b32_e64 v11, v11, v12, s[2:3]
	;; [unrolled: 1-line block ×3, first 2 shown]
	v_sub_u32_e32 v17, 32, v9
	v_alignbit_b32 v19, v11, v12, v17
	v_cmp_eq_u32_e64 s[4:5], 0, v9
	v_cndmask_b32_e64 v9, v19, v11, s[4:5]
	v_cndmask_b32_e32 v11, v22, v18, vcc
	v_cndmask_b32_e64 v13, v13, v11, s[0:1]
	v_cndmask_b32_e64 v15, v15, v13, s[2:3]
	v_alignbit_b32 v18, v12, v15, v17
	v_cndmask_b32_e32 v16, v20, v16, vcc
	v_cndmask_b32_e64 v12, v18, v12, s[4:5]
	v_bfe_u32 v21, v9, 29, 1
	v_cndmask_b32_e64 v11, v11, v16, s[0:1]
	v_alignbit_b32 v18, v9, v12, 30
	v_sub_u32_e32 v22, 0, v21
	v_cndmask_b32_e64 v11, v13, v11, s[2:3]
	v_xor_b32_e32 v23, v18, v22
	v_alignbit_b32 v13, v15, v11, v17
	v_cndmask_b32_e64 v13, v13, v15, s[4:5]
	v_ffbh_u32_e32 v15, v23
	v_add_u32_e32 v15, 1, v15
	v_cmp_ne_u32_e32 vcc, v18, v22
	v_alignbit_b32 v12, v12, v13, 30
	v_cndmask_b32_e32 v15, 33, v15, vcc
	v_alignbit_b32 v11, v13, v11, 30
	v_xor_b32_e32 v12, v12, v22
	v_sub_u32_e32 v16, 32, v15
	v_xor_b32_e32 v11, v11, v22
	v_alignbit_b32 v17, v23, v12, v16
	v_alignbit_b32 v11, v12, v11, v16
	;; [unrolled: 1-line block ×3, first 2 shown]
	v_ffbh_u32_e32 v13, v12
	v_min_u32_e32 v13, 32, v13
	v_lshrrev_b32_e32 v19, 29, v9
	v_sub_u32_e32 v16, 31, v13
	v_alignbit_b32 v11, v12, v11, v16
	v_lshlrev_b32_e32 v12, 31, v19
	v_or_b32_e32 v16, 0x33800000, v12
	v_add_lshl_u32 v13, v13, v15, 23
	v_lshrrev_b32_e32 v11, 9, v11
	v_sub_u32_e32 v13, v16, v13
	v_or_b32_e32 v11, v13, v11
	v_alignbit_b32 v13, v15, v17, 9
	v_or_b32_e32 v12, v13, v12
	v_xor_b32_e32 v12, 1.0, v12
	s_mov_b32 s0, 0x3fc90fda
	v_mul_f32_e32 v13, 0x3fc90fda, v12
	v_fma_f32 v15, v12, s0, -v13
	v_fmac_f32_e32 v15, 0x33a22168, v12
	v_fmac_f32_e32 v15, 0x3fc90fda, v11
	v_lshrrev_b32_e32 v9, 30, v9
	v_add_f32_e32 v11, v13, v15
	v_add_u32_e32 v9, v21, v9
	s_andn2_saveexec_b64 s[0:1], s[14:15]
	s_branch .LBB19_100
.LBB19_99:
	s_andn2_saveexec_b64 s[0:1], s[14:15]
.LBB19_100:
	s_mov_b32 s2, 0x3f22f983
	v_mul_f32_e64 v9, |v3|, s2
	v_rndne_f32_e32 v12, v9
	s_mov_b32 s2, 0xbfc90fda
	v_cvt_i32_f32_e32 v9, v12
	v_fma_f32 v11, v12, s2, |v3|
	v_fmac_f32_e32 v11, 0xb3a22168, v12
	v_fmac_f32_e32 v11, 0xa7c234c4, v12
; %bb.101:
	s_or_b64 exec, exec, s[0:1]
                                        ; implicit-def: $vgpr12
                                        ; implicit-def: $vgpr13
	s_and_saveexec_b64 s[0:1], s[12:13]
	s_xor_b64 s[12:13], exec, s[0:1]
	s_cbranch_execz .LBB19_103
; %bb.102:
	v_add_u32_e32 v12, 0xffffff88, v14
	v_not_b32_e32 v14, 63
	v_cmp_lt_u32_e32 vcc, 63, v12
	v_cndmask_b32_e32 v14, 0, v14, vcc
	v_add_u32_e32 v12, v14, v12
	v_not_b32_e32 v14, 31
	v_cmp_lt_u32_e64 s[0:1], 31, v12
	v_cndmask_b32_e64 v15, 0, v14, s[0:1]
	v_add_u32_e32 v12, v15, v12
	v_cmp_lt_u32_e64 s[2:3], 31, v12
	v_cndmask_b32_e64 v14, 0, v14, s[2:3]
	v_add_u32_e32 v26, v14, v12
	v_and_b32_e32 v12, 0x7fffff, v7
	v_or_b32_e32 v27, 0x800000, v12
	s_mov_b32 s4, 0xfe5163ab
	v_mad_u64_u32 v[14:15], s[4:5], v27, s4, 0
	v_mov_b32_e32 v13, 0
	v_mov_b32_e32 v12, v15
	s_mov_b32 s4, 0x3c439041
	v_mad_u64_u32 v[16:17], s[4:5], v27, s4, v[12:13]
	v_mov_b32_e32 v12, v17
	s_mov_b32 s4, 0xdb629599
	v_mad_u64_u32 v[18:19], s[4:5], v27, s4, v[12:13]
	v_mov_b32_e32 v12, v19
	s_mov_b32 s4, 0xf534ddc0
	v_mad_u64_u32 v[20:21], s[4:5], v27, s4, v[12:13]
	v_mov_b32_e32 v12, v21
	s_mov_b32 s4, 0xfc2757d1
	v_mad_u64_u32 v[22:23], s[4:5], v27, s4, v[12:13]
	v_mov_b32_e32 v12, v23
	s_mov_b32 s4, 0x4e441529
	v_mad_u64_u32 v[24:25], s[4:5], v27, s4, v[12:13]
	v_mov_b32_e32 v12, v25
	s_mov_b32 s4, 0xa2f9836e
	v_mad_u64_u32 v[12:13], s[4:5], v27, s4, v[12:13]
	v_cndmask_b32_e32 v15, v24, v20, vcc
	v_cndmask_b32_e32 v12, v12, v22, vcc
	;; [unrolled: 1-line block ×3, first 2 shown]
	v_cndmask_b32_e64 v17, v12, v15, s[0:1]
	v_cndmask_b32_e64 v12, v13, v12, s[0:1]
	v_cndmask_b32_e32 v13, v22, v18, vcc
	v_cndmask_b32_e64 v15, v15, v13, s[0:1]
	v_cndmask_b32_e32 v16, v20, v16, vcc
	v_cndmask_b32_e64 v12, v12, v17, s[2:3]
	v_cndmask_b32_e64 v17, v17, v15, s[2:3]
	v_sub_u32_e32 v19, 32, v26
	v_cndmask_b32_e64 v13, v13, v16, s[0:1]
	v_alignbit_b32 v21, v12, v17, v19
	v_cmp_eq_u32_e64 s[4:5], 0, v26
	v_cndmask_b32_e64 v15, v15, v13, s[2:3]
	v_cndmask_b32_e64 v12, v21, v12, s[4:5]
	v_alignbit_b32 v20, v17, v15, v19
	v_cndmask_b32_e64 v17, v20, v17, s[4:5]
	v_bfe_u32 v22, v12, 29, 1
	v_cndmask_b32_e32 v14, v18, v14, vcc
	v_alignbit_b32 v20, v12, v17, 30
	v_sub_u32_e32 v23, 0, v22
	v_cndmask_b32_e64 v14, v16, v14, s[0:1]
	v_xor_b32_e32 v24, v20, v23
	v_cndmask_b32_e64 v13, v13, v14, s[2:3]
	v_alignbit_b32 v14, v15, v13, v19
	v_ffbh_u32_e32 v16, v24
	v_cndmask_b32_e64 v14, v14, v15, s[4:5]
	v_add_u32_e32 v16, 1, v16
	v_cmp_ne_u32_e32 vcc, v20, v23
	v_alignbit_b32 v15, v17, v14, 30
	v_cndmask_b32_e32 v16, 33, v16, vcc
	v_alignbit_b32 v13, v14, v13, 30
	v_xor_b32_e32 v15, v15, v23
	v_sub_u32_e32 v17, 32, v16
	v_xor_b32_e32 v13, v13, v23
	v_alignbit_b32 v18, v24, v15, v17
	v_alignbit_b32 v13, v15, v13, v17
	v_alignbit_b32 v14, v18, v13, 9
	v_ffbh_u32_e32 v15, v14
	v_min_u32_e32 v15, 32, v15
	v_lshrrev_b32_e32 v21, 29, v12
	v_sub_u32_e32 v17, 31, v15
	v_alignbit_b32 v13, v14, v13, v17
	v_lshlrev_b32_e32 v14, 31, v21
	v_or_b32_e32 v17, 0x33800000, v14
	v_add_lshl_u32 v15, v15, v16, 23
	v_lshrrev_b32_e32 v13, 9, v13
	v_sub_u32_e32 v15, v17, v15
	v_or_b32_e32 v13, v15, v13
	v_alignbit_b32 v15, v16, v18, 9
	v_or_b32_e32 v14, v15, v14
	v_xor_b32_e32 v14, 1.0, v14
	s_mov_b32 s0, 0x3fc90fda
	v_mul_f32_e32 v15, 0x3fc90fda, v14
	v_fma_f32 v16, v14, s0, -v15
	v_fmac_f32_e32 v16, 0x33a22168, v14
	v_fmac_f32_e32 v16, 0x3fc90fda, v13
	v_lshrrev_b32_e32 v12, 30, v12
	v_add_f32_e32 v13, v15, v16
	v_add_u32_e32 v12, v22, v12
	s_andn2_saveexec_b64 s[0:1], s[12:13]
	s_cbranch_execnz .LBB19_104
	s_branch .LBB19_105
.LBB19_103:
	s_andn2_saveexec_b64 s[0:1], s[12:13]
.LBB19_104:
	s_mov_b32 s2, 0x3f22f983
	v_mul_f32_e64 v12, |v3|, s2
	v_rndne_f32_e32 v14, v12
	s_mov_b32 s2, 0xbfc90fda
	v_cvt_i32_f32_e32 v12, v14
	v_fma_f32 v13, v14, s2, |v3|
	v_fmac_f32_e32 v13, 0xb3a22168, v14
	v_fmac_f32_e32 v13, 0xa7c234c4, v14
.LBB19_105:
	s_or_b64 exec, exec, s[0:1]
	v_mul_f32_e32 v14, v5, v5
	s_mov_b32 s2, 0x41c80000
	v_div_scale_f32 v15, s[0:1], v14, v14, s2
	v_rcp_f32_e32 v16, v15
	v_mov_b32_e32 v23, 0xbf000004
	s_mov_b32 s4, 0xc0a00000
	v_fma_f32 v17, -v15, v16, 1.0
	v_fmac_f32_e32 v16, v17, v16
	v_div_scale_f32 v17, vcc, s2, v14, s2
	v_mul_f32_e32 v18, v17, v16
	v_fma_f32 v19, -v15, v18, v17
	v_fmac_f32_e32 v18, v19, v16
	v_fma_f32 v15, -v15, v18, v17
	v_div_fmas_f32 v15, v15, v16, v18
	v_div_fixup_f32 v14, v15, v14, s2
	v_mov_b32_e32 v15, 0x3a50e985
	v_fmac_f32_e32 v15, 0, v14
	v_mov_b32_e32 v16, 0x3da9a586
	v_fmac_f32_e32 v16, v14, v15
	;; [unrolled: 2-line block ×12, first 2 shown]
	v_fma_f32 v15, v14, v17, 1.0
	v_mov_b32_e32 v17, 0xbc3a3a12
	v_fmac_f32_e32 v17, 0, v14
	v_mov_b32_e32 v18, 0xbfa429da
	v_fmac_f32_e32 v18, v14, v17
	;; [unrolled: 2-line block ×9, first 2 shown]
	v_mov_b32_e32 v19, 0x44561b86
	v_fma_f32 v16, v14, v16, 1.0
	v_fmac_f32_e32 v19, v14, v17
	v_mov_b32_e32 v17, 0x4572a66e
	v_div_scale_f32 v20, s[0:1], v15, v15, v16
	v_fmac_f32_e32 v17, v14, v19
	v_mov_b32_e32 v19, 0x45e243be
	v_rcp_f32_e32 v21, v20
	v_fmac_f32_e32 v19, v14, v17
	v_mov_b32_e32 v17, 0x45b955d1
	v_fmac_f32_e32 v17, v14, v19
	v_mov_b32_e32 v19, 0x4500e17e
	;; [unrolled: 2-line block ×3, first 2 shown]
	v_fmac_f32_e32 v17, v14, v19
	v_fma_f32 v14, -v20, v21, 1.0
	v_fmac_f32_e32 v21, v14, v21
	v_div_scale_f32 v14, vcc, v16, v15, v16
	v_mul_f32_e32 v19, v14, v21
	v_fma_f32 v22, -v20, v19, v14
	v_fmac_f32_e32 v19, v22, v21
	v_fma_f32 v14, -v20, v19, v14
	v_div_fmas_f32 v14, v14, v21, v19
	v_div_fixup_f32 v14, v14, v15, v16
	v_mul_f32_e32 v15, v11, v11
	v_mov_b32_e32 v21, 0xbab64f3b
	v_mov_b32_e32 v19, 0x3c0881c4
	v_fmac_f32_e32 v21, 0x37d75334, v15
	v_mov_b32_e32 v22, 0x3d2aabf7
	v_fmac_f32_e32 v19, 0xb94c1982, v15
	v_mov_b32_e32 v20, 0xbe2aaa9d
	v_fma_f32 v21, v15, v21, v22
	v_fma_f32 v19, v15, v19, v20
	;; [unrolled: 1-line block ×3, first 2 shown]
	v_mul_f32_e32 v19, v15, v19
	v_fma_f32 v15, v15, v21, 1.0
	v_and_b32_e32 v21, 1, v9
	v_fmac_f32_e32 v11, v11, v19
	v_cmp_eq_u32_e32 vcc, 0, v21
	v_lshlrev_b32_e32 v9, 30, v9
	v_cndmask_b32_e64 v11, -v11, v15, vcc
	v_and_b32_e32 v9, 0x80000000, v9
	v_xor_b32_e32 v9, v9, v11
	v_div_scale_f32 v11, s[0:1], v5, v5, s4
	v_rcp_f32_e32 v15, v11
	s_movk_i32 s2, 0x1f8
	v_cmp_class_f32_e64 s[0:1], v3, s2
	v_mov_b32_e32 v16, 0x3c0881c4
	v_fma_f32 v24, -v11, v15, 1.0
	v_fmac_f32_e32 v15, v24, v15
	v_div_scale_f32 v24, vcc, s4, v5, s4
	v_mul_f32_e32 v25, v24, v15
	v_fma_f32 v26, -v11, v25, v24
	v_fmac_f32_e32 v25, v26, v15
	v_fma_f32 v11, -v11, v25, v24
	v_div_scale_f32 v24, s[2:3], v17, v17, v18
	v_rcp_f32_e32 v26, v24
	v_div_fmas_f32 v11, v11, v15, v25
	v_div_fixup_f32 v11, v11, v5, s4
	v_mov_b32_e32 v19, 0xbab64f3b
	v_fma_f32 v15, -v24, v26, 1.0
	v_fmac_f32_e32 v26, v15, v26
	v_div_scale_f32 v15, vcc, v18, v17, v18
	v_mul_f32_e32 v25, v15, v26
	v_fma_f32 v27, -v24, v25, v15
	v_fmac_f32_e32 v25, v27, v26
	v_fma_f32 v15, -v24, v25, v15
	v_div_fmas_f32 v15, v15, v26, v25
	v_div_fixup_f32 v15, v15, v17, v18
	v_mul_f32_e32 v11, v11, v15
	v_mul_f32_e32 v15, v13, v13
	v_fmac_f32_e32 v16, 0xb94c1982, v15
	v_fmac_f32_e32 v20, v15, v16
	;; [unrolled: 1-line block ×3, first 2 shown]
	v_mul_f32_e32 v16, v15, v20
	v_fmac_f32_e32 v22, v15, v19
	v_fmac_f32_e32 v13, v13, v16
	;; [unrolled: 1-line block ×3, first 2 shown]
	v_and_b32_e32 v16, 1, v12
	v_lshlrev_b32_e32 v12, 30, v12
	v_fma_f32 v15, v15, v23, 1.0
	v_cmp_eq_u32_e32 vcc, 0, v16
	v_and_b32_e32 v12, 0x80000000, v12
	v_xor_b32_e32 v3, v7, v3
	v_cndmask_b32_e32 v13, v15, v13, vcc
	v_xor_b32_e32 v3, v3, v12
	v_mov_b32_e32 v21, 0x7fc00000
	v_xor_b32_e32 v3, v3, v13
	v_cndmask_b32_e64 v9, v21, v9, s[0:1]
	v_cndmask_b32_e64 v3, v21, v3, s[0:1]
	s_mov_b32 s0, 0xf800000
	v_mul_f32_e32 v7, 0x4f800000, v5
	v_cmp_gt_f32_e32 vcc, s0, v5
	v_cndmask_b32_e32 v5, v5, v7, vcc
	v_sqrt_f32_e32 v7, v5
	v_mul_f32_e32 v3, v11, v3
	v_fmac_f32_e32 v3, v14, v9
	v_mul_f32_e32 v3, 0x3f4c422a, v3
	v_add_u32_e32 v9, -1, v7
	v_fma_f32 v11, -v9, v7, v5
	v_cmp_ge_f32_e64 s[0:1], 0, v11
	v_add_u32_e32 v11, 1, v7
	v_cndmask_b32_e64 v9, v7, v9, s[0:1]
	v_fma_f32 v7, -v11, v7, v5
	v_cmp_lt_f32_e64 s[0:1], 0, v7
	v_cndmask_b32_e64 v7, v9, v11, s[0:1]
	v_mul_f32_e32 v9, 0x37800000, v7
	v_cndmask_b32_e32 v7, v7, v9, vcc
	v_mov_b32_e32 v9, 0x260
	v_cmp_class_f32_e32 vcc, v5, v9
	v_cndmask_b32_e32 v5, v7, v5, vcc
	v_div_scale_f32 v7, s[0:1], v5, v5, v3
	v_rcp_f32_e32 v9, v7
	v_fma_f32 v11, -v7, v9, 1.0
	v_fmac_f32_e32 v9, v11, v9
	v_div_scale_f32 v11, vcc, v3, v5, v3
	v_mul_f32_e32 v12, v11, v9
	v_fma_f32 v13, -v7, v12, v11
	v_fmac_f32_e32 v12, v13, v9
	v_fma_f32 v7, -v7, v12, v11
	v_div_fmas_f32 v7, v7, v9, v12
	v_div_fixup_f32 v3, v7, v5, v3
.LBB19_106:
	s_or_b64 exec, exec, s[6:7]
	global_load_dword v5, v10, s[10:11]
	s_mov_b32 s0, 0x40a00000
	s_waitcnt vmcnt(0)
	v_cmp_gt_f32_e32 vcc, 0, v5
	v_cndmask_b32_e64 v7, v5, -v5, vcc
	v_cmp_ge_f32_e32 vcc, s0, v7
                                        ; implicit-def: $vgpr5
	s_and_saveexec_b64 s[0:1], vcc
	s_xor_b64 s[0:1], exec, s[0:1]
	s_cbranch_execz .LBB19_112
; %bb.107:
	s_mov_b32 s2, 0x3727c5ac
	v_cmp_ngt_f32_e32 vcc, s2, v7
	v_mul_f32_e32 v10, v7, v7
                                        ; implicit-def: $vgpr5
	s_and_saveexec_b64 s[2:3], vcc
	s_xor_b64 s[2:3], exec, s[2:3]
	s_cbranch_execz .LBB19_109
; %bb.108:
	v_mov_b32_e32 v5, 0x43f9c815
	v_fmac_f32_e32 v5, 0, v10
	v_mov_b32_e32 v7, 0x4829b65a
	v_fmac_f32_e32 v7, v10, v5
	;; [unrolled: 2-line block ×4, first 2 shown]
	s_mov_b32 s4, 0xcf8ee29d
	v_mul_f32_e32 v12, 0, v10
	v_mul_f32_e32 v13, v10, v7
	s_mov_b32 s5, 0x53f5f59c
	v_pk_add_f32 v[12:13], v[12:13], s[4:5]
	s_mov_b32 s4, 0x53e3ba8e
	s_mov_b32 s5, 0x578d3514
	v_pk_fma_f32 v[12:13], v[10:11], v[12:13], s[4:5] op_sel_hi:[0,1,1]
	s_mov_b32 s4, 0xd762b0a7
	s_mov_b32 s5, 0x5ae20a0c
	v_pk_fma_f32 v[12:13], v[10:11], v[12:13], s[4:5] op_sel_hi:[0,1,1]
	s_mov_b32 s4, 0x5a09f7c3
	s_mov_b32 s5, 0x5dbdf1a6
	v_pk_fma_f32 v[12:13], v[10:11], v[12:13], s[4:5] op_sel_hi:[0,1,1]
	s_mov_b32 s4, 0xc0b90fdc
	s_mov_b32 s5, 0xc1f3c525
	v_pk_add_f32 v[10:11], v[10:11], s[4:5] op_sel_hi:[0,1]
	v_mul_f32_e32 v5, v10, v11
	v_mul_f32_e32 v5, v5, v12
	v_div_scale_f32 v7, s[4:5], v13, v13, v5
	v_rcp_f32_e32 v9, v7
	v_fma_f32 v10, -v7, v9, 1.0
	v_fmac_f32_e32 v9, v10, v9
	v_div_scale_f32 v10, vcc, v5, v13, v5
	v_mul_f32_e32 v11, v10, v9
	v_fma_f32 v12, -v7, v11, v10
	v_fmac_f32_e32 v11, v12, v9
	v_fma_f32 v7, -v7, v11, v10
	v_div_fmas_f32 v7, v7, v9, v11
	v_div_fixup_f32 v5, v7, v13, v5
                                        ; implicit-def: $vgpr10
.LBB19_109:
	s_andn2_saveexec_b64 s[2:3], s[2:3]
; %bb.110:
	s_mov_b32 s4, 0xbe800000
	v_fma_f32 v5, v10, s4, 1.0
; %bb.111:
	s_or_b64 exec, exec, s[2:3]
                                        ; implicit-def: $vgpr7
.LBB19_112:
	s_andn2_saveexec_b64 s[6:7], s[0:1]
	s_cbranch_execz .LBB19_122
; %bb.113:
	v_add_f32_e32 v5, 0xbf490fdb, v7
	v_and_b32_e32 v9, 0x7fffffff, v5
	s_brev_b32 s0, 18
	v_cmp_nlt_f32_e64 s[12:13], |v5|, s0
	v_lshrrev_b32_e32 v14, 23, v9
                                        ; implicit-def: $vgpr10
                                        ; implicit-def: $vgpr11
	s_and_saveexec_b64 s[0:1], s[12:13]
	s_xor_b64 s[14:15], exec, s[0:1]
	s_cbranch_execz .LBB19_115
; %bb.114:
	v_add_u32_e32 v10, 0xffffff88, v14
	v_not_b32_e32 v12, 63
	v_cmp_lt_u32_e32 vcc, 63, v10
	v_cndmask_b32_e32 v12, 0, v12, vcc
	v_add_u32_e32 v10, v12, v10
	v_not_b32_e32 v12, 31
	v_cmp_lt_u32_e64 s[0:1], 31, v10
	v_cndmask_b32_e64 v13, 0, v12, s[0:1]
	v_add_u32_e32 v10, v13, v10
	v_cmp_lt_u32_e64 s[2:3], 31, v10
	v_cndmask_b32_e64 v12, 0, v12, s[2:3]
	v_add_u32_e32 v15, v12, v10
	v_and_b32_e32 v10, 0x7fffff, v9
	v_or_b32_e32 v26, 0x800000, v10
	s_mov_b32 s4, 0xfe5163ab
	v_mad_u64_u32 v[12:13], s[4:5], v26, s4, 0
	v_mov_b32_e32 v11, 0
	v_mov_b32_e32 v10, v13
	s_mov_b32 s4, 0x3c439041
	v_mad_u64_u32 v[16:17], s[4:5], v26, s4, v[10:11]
	v_mov_b32_e32 v10, v17
	s_mov_b32 s4, 0xdb629599
	v_mad_u64_u32 v[18:19], s[4:5], v26, s4, v[10:11]
	;; [unrolled: 3-line block ×6, first 2 shown]
	v_cndmask_b32_e32 v13, v24, v20, vcc
	v_cndmask_b32_e32 v10, v10, v22, vcc
	;; [unrolled: 1-line block ×3, first 2 shown]
	v_cndmask_b32_e64 v17, v10, v13, s[0:1]
	v_cndmask_b32_e64 v10, v11, v10, s[0:1]
	v_cndmask_b32_e32 v11, v22, v18, vcc
	v_cndmask_b32_e64 v13, v13, v11, s[0:1]
	v_sub_u32_e32 v19, 32, v15
	v_cmp_eq_u32_e64 s[4:5], 0, v15
	v_cndmask_b32_e32 v15, v20, v16, vcc
	v_cndmask_b32_e64 v10, v10, v17, s[2:3]
	v_cndmask_b32_e64 v17, v17, v13, s[2:3]
	;; [unrolled: 1-line block ×3, first 2 shown]
	v_alignbit_b32 v21, v10, v17, v19
	v_cndmask_b32_e64 v13, v13, v11, s[2:3]
	v_cndmask_b32_e64 v10, v21, v10, s[4:5]
	v_alignbit_b32 v16, v17, v13, v19
	v_cndmask_b32_e64 v16, v16, v17, s[4:5]
	v_bfe_u32 v21, v10, 29, 1
	v_cndmask_b32_e32 v12, v18, v12, vcc
	v_alignbit_b32 v17, v10, v16, 30
	v_sub_u32_e32 v22, 0, v21
	v_cndmask_b32_e64 v12, v15, v12, s[0:1]
	v_xor_b32_e32 v23, v17, v22
	v_cndmask_b32_e64 v11, v11, v12, s[2:3]
	v_alignbit_b32 v12, v13, v11, v19
	v_ffbh_u32_e32 v15, v23
	v_cndmask_b32_e64 v12, v12, v13, s[4:5]
	v_add_u32_e32 v15, 1, v15
	v_cmp_ne_u32_e32 vcc, v17, v22
	v_alignbit_b32 v13, v16, v12, 30
	v_cndmask_b32_e32 v15, 33, v15, vcc
	v_alignbit_b32 v11, v12, v11, 30
	v_xor_b32_e32 v13, v13, v22
	v_sub_u32_e32 v16, 32, v15
	v_xor_b32_e32 v11, v11, v22
	v_alignbit_b32 v17, v23, v13, v16
	v_alignbit_b32 v11, v13, v11, v16
	;; [unrolled: 1-line block ×3, first 2 shown]
	v_ffbh_u32_e32 v13, v12
	v_min_u32_e32 v13, 32, v13
	v_lshrrev_b32_e32 v20, 29, v10
	v_sub_u32_e32 v16, 31, v13
	v_alignbit_b32 v11, v12, v11, v16
	v_lshlrev_b32_e32 v12, 31, v20
	v_or_b32_e32 v16, 0x33800000, v12
	v_add_lshl_u32 v13, v13, v15, 23
	v_lshrrev_b32_e32 v11, 9, v11
	v_sub_u32_e32 v13, v16, v13
	v_or_b32_e32 v11, v13, v11
	v_alignbit_b32 v13, v15, v17, 9
	v_or_b32_e32 v12, v13, v12
	v_xor_b32_e32 v12, 1.0, v12
	s_mov_b32 s0, 0x3fc90fda
	v_mul_f32_e32 v13, 0x3fc90fda, v12
	v_fma_f32 v15, v12, s0, -v13
	v_fmac_f32_e32 v15, 0x33a22168, v12
	v_fmac_f32_e32 v15, 0x3fc90fda, v11
	v_lshrrev_b32_e32 v10, 30, v10
	v_add_f32_e32 v11, v13, v15
	v_add_u32_e32 v10, v21, v10
	s_andn2_saveexec_b64 s[0:1], s[14:15]
	s_branch .LBB19_116
.LBB19_115:
	s_andn2_saveexec_b64 s[0:1], s[14:15]
.LBB19_116:
	s_mov_b32 s2, 0x3f22f983
	v_mul_f32_e64 v10, |v5|, s2
	v_rndne_f32_e32 v12, v10
	s_mov_b32 s2, 0xbfc90fda
	v_cvt_i32_f32_e32 v10, v12
	v_fma_f32 v11, v12, s2, |v5|
	v_fmac_f32_e32 v11, 0xb3a22168, v12
	v_fmac_f32_e32 v11, 0xa7c234c4, v12
; %bb.117:
	s_or_b64 exec, exec, s[0:1]
                                        ; implicit-def: $vgpr12
                                        ; implicit-def: $vgpr13
	s_and_saveexec_b64 s[0:1], s[12:13]
	s_xor_b64 s[12:13], exec, s[0:1]
	s_cbranch_execz .LBB19_119
; %bb.118:
	v_add_u32_e32 v12, 0xffffff88, v14
	v_not_b32_e32 v14, 63
	v_cmp_lt_u32_e32 vcc, 63, v12
	v_cndmask_b32_e32 v14, 0, v14, vcc
	v_add_u32_e32 v12, v14, v12
	v_not_b32_e32 v14, 31
	v_cmp_lt_u32_e64 s[0:1], 31, v12
	v_cndmask_b32_e64 v15, 0, v14, s[0:1]
	v_add_u32_e32 v12, v15, v12
	v_cmp_lt_u32_e64 s[2:3], 31, v12
	v_cndmask_b32_e64 v14, 0, v14, s[2:3]
	v_add_u32_e32 v26, v14, v12
	v_and_b32_e32 v12, 0x7fffff, v9
	v_or_b32_e32 v27, 0x800000, v12
	s_mov_b32 s4, 0xfe5163ab
	v_mad_u64_u32 v[14:15], s[4:5], v27, s4, 0
	v_mov_b32_e32 v13, 0
	v_mov_b32_e32 v12, v15
	s_mov_b32 s4, 0x3c439041
	v_mad_u64_u32 v[16:17], s[4:5], v27, s4, v[12:13]
	v_mov_b32_e32 v12, v17
	s_mov_b32 s4, 0xdb629599
	v_mad_u64_u32 v[18:19], s[4:5], v27, s4, v[12:13]
	v_mov_b32_e32 v12, v19
	s_mov_b32 s4, 0xf534ddc0
	v_mad_u64_u32 v[20:21], s[4:5], v27, s4, v[12:13]
	v_mov_b32_e32 v12, v21
	s_mov_b32 s4, 0xfc2757d1
	v_mad_u64_u32 v[22:23], s[4:5], v27, s4, v[12:13]
	v_mov_b32_e32 v12, v23
	s_mov_b32 s4, 0x4e441529
	v_mad_u64_u32 v[24:25], s[4:5], v27, s4, v[12:13]
	v_mov_b32_e32 v12, v25
	s_mov_b32 s4, 0xa2f9836e
	v_mad_u64_u32 v[12:13], s[4:5], v27, s4, v[12:13]
	v_cndmask_b32_e32 v15, v24, v20, vcc
	v_cndmask_b32_e32 v12, v12, v22, vcc
	v_cndmask_b32_e32 v13, v13, v24, vcc
	v_cndmask_b32_e64 v17, v12, v15, s[0:1]
	v_cndmask_b32_e64 v12, v13, v12, s[0:1]
	v_cndmask_b32_e32 v13, v22, v18, vcc
	v_cndmask_b32_e64 v15, v15, v13, s[0:1]
	v_cndmask_b32_e32 v16, v20, v16, vcc
	v_cndmask_b32_e64 v12, v12, v17, s[2:3]
	v_cndmask_b32_e64 v17, v17, v15, s[2:3]
	v_sub_u32_e32 v19, 32, v26
	v_cndmask_b32_e64 v13, v13, v16, s[0:1]
	v_alignbit_b32 v21, v12, v17, v19
	v_cmp_eq_u32_e64 s[4:5], 0, v26
	v_cndmask_b32_e64 v15, v15, v13, s[2:3]
	v_cndmask_b32_e64 v12, v21, v12, s[4:5]
	v_alignbit_b32 v20, v17, v15, v19
	v_cndmask_b32_e64 v17, v20, v17, s[4:5]
	v_bfe_u32 v22, v12, 29, 1
	v_cndmask_b32_e32 v14, v18, v14, vcc
	v_alignbit_b32 v20, v12, v17, 30
	v_sub_u32_e32 v23, 0, v22
	v_cndmask_b32_e64 v14, v16, v14, s[0:1]
	v_xor_b32_e32 v24, v20, v23
	v_cndmask_b32_e64 v13, v13, v14, s[2:3]
	v_alignbit_b32 v14, v15, v13, v19
	v_ffbh_u32_e32 v16, v24
	v_cndmask_b32_e64 v14, v14, v15, s[4:5]
	v_add_u32_e32 v16, 1, v16
	v_cmp_ne_u32_e32 vcc, v20, v23
	v_alignbit_b32 v15, v17, v14, 30
	v_cndmask_b32_e32 v16, 33, v16, vcc
	v_alignbit_b32 v13, v14, v13, 30
	v_xor_b32_e32 v15, v15, v23
	v_sub_u32_e32 v17, 32, v16
	v_xor_b32_e32 v13, v13, v23
	v_alignbit_b32 v18, v24, v15, v17
	v_alignbit_b32 v13, v15, v13, v17
	;; [unrolled: 1-line block ×3, first 2 shown]
	v_ffbh_u32_e32 v15, v14
	v_min_u32_e32 v15, 32, v15
	v_lshrrev_b32_e32 v21, 29, v12
	v_sub_u32_e32 v17, 31, v15
	v_alignbit_b32 v13, v14, v13, v17
	v_lshlrev_b32_e32 v14, 31, v21
	v_or_b32_e32 v17, 0x33800000, v14
	v_add_lshl_u32 v15, v15, v16, 23
	v_lshrrev_b32_e32 v13, 9, v13
	v_sub_u32_e32 v15, v17, v15
	v_or_b32_e32 v13, v15, v13
	v_alignbit_b32 v15, v16, v18, 9
	v_or_b32_e32 v14, v15, v14
	v_xor_b32_e32 v14, 1.0, v14
	s_mov_b32 s0, 0x3fc90fda
	v_mul_f32_e32 v15, 0x3fc90fda, v14
	v_fma_f32 v16, v14, s0, -v15
	v_fmac_f32_e32 v16, 0x33a22168, v14
	v_fmac_f32_e32 v16, 0x3fc90fda, v13
	v_lshrrev_b32_e32 v12, 30, v12
	v_add_f32_e32 v13, v15, v16
	v_add_u32_e32 v12, v22, v12
	s_andn2_saveexec_b64 s[0:1], s[12:13]
	s_cbranch_execnz .LBB19_120
	s_branch .LBB19_121
.LBB19_119:
	s_andn2_saveexec_b64 s[0:1], s[12:13]
.LBB19_120:
	s_mov_b32 s2, 0x3f22f983
	v_mul_f32_e64 v12, |v5|, s2
	v_rndne_f32_e32 v14, v12
	s_mov_b32 s2, 0xbfc90fda
	v_cvt_i32_f32_e32 v12, v14
	v_fma_f32 v13, v14, s2, |v5|
	v_fmac_f32_e32 v13, 0xb3a22168, v14
	v_fmac_f32_e32 v13, 0xa7c234c4, v14
.LBB19_121:
	s_or_b64 exec, exec, s[0:1]
	v_mul_f32_e32 v14, v7, v7
	s_mov_b32 s2, 0x41c80000
	v_div_scale_f32 v15, s[0:1], v14, v14, s2
	v_rcp_f32_e32 v16, v15
	v_mov_b32_e32 v23, 0xbf000004
	s_mov_b32 s4, 0xc0a00000
	v_fma_f32 v17, -v15, v16, 1.0
	v_fmac_f32_e32 v16, v17, v16
	v_div_scale_f32 v17, vcc, s2, v14, s2
	v_mul_f32_e32 v18, v17, v16
	v_fma_f32 v19, -v15, v18, v17
	v_fmac_f32_e32 v18, v19, v16
	v_fma_f32 v15, -v15, v18, v17
	v_div_fmas_f32 v15, v15, v16, v18
	v_div_fixup_f32 v14, v15, v14, s2
	v_mov_b32_e32 v15, 0x3a50e985
	v_fmac_f32_e32 v15, 0, v14
	v_mov_b32_e32 v16, 0x3da9a586
	v_fmac_f32_e32 v16, v14, v15
	v_mov_b32_e32 v15, 0x3f9ea90a
	v_fmac_f32_e32 v15, v14, v16
	v_mov_b32_e32 v16, 0x40ae4fdf
	v_fmac_f32_e32 v16, v14, v15
	v_mov_b32_e32 v15, 0x410bf463
	v_fmac_f32_e32 v15, v14, v16
	v_mov_b32_e32 v16, 0x40a9b425
	v_fmac_f32_e32 v16, v14, v15
	v_mov_b32_e32 v15, 0x3a725406
	v_fmac_f32_e32 v15, 0, v14
	v_mov_b32_e32 v17, 0x3daf5e2d
	v_fmac_f32_e32 v17, v14, v15
	v_mov_b32_e32 v15, 0x3fa07396
	v_fmac_f32_e32 v15, v14, v17
	v_mov_b32_e32 v17, 0x40af123f
	v_fmac_f32_e32 v17, v14, v15
	v_mov_b32_e32 v15, 0x410c30c7
	v_fmac_f32_e32 v15, v14, v17
	v_mov_b32_e32 v17, 0x40a9cb2f
	v_fmac_f32_e32 v17, v14, v15
	v_fma_f32 v15, v14, v17, 1.0
	v_mov_b32_e32 v17, 0xbc3a3a12
	v_fmac_f32_e32 v17, 0, v14
	v_mov_b32_e32 v18, 0xbfa429da
	v_fmac_f32_e32 v18, v14, v17
	;; [unrolled: 2-line block ×9, first 2 shown]
	v_mov_b32_e32 v19, 0x44561b86
	v_fma_f32 v16, v14, v16, 1.0
	v_fmac_f32_e32 v19, v14, v17
	v_mov_b32_e32 v17, 0x4572a66e
	v_div_scale_f32 v20, s[0:1], v15, v15, v16
	v_fmac_f32_e32 v17, v14, v19
	v_mov_b32_e32 v19, 0x45e243be
	v_rcp_f32_e32 v21, v20
	v_fmac_f32_e32 v19, v14, v17
	v_mov_b32_e32 v17, 0x45b955d1
	v_fmac_f32_e32 v17, v14, v19
	v_mov_b32_e32 v19, 0x4500e17e
	v_fmac_f32_e32 v19, v14, v17
	v_mov_b32_e32 v17, 0x43720178
	v_fmac_f32_e32 v17, v14, v19
	v_fma_f32 v14, -v20, v21, 1.0
	v_fmac_f32_e32 v21, v14, v21
	v_div_scale_f32 v14, vcc, v16, v15, v16
	v_mul_f32_e32 v19, v14, v21
	v_fma_f32 v22, -v20, v19, v14
	v_fmac_f32_e32 v19, v22, v21
	v_fma_f32 v14, -v20, v19, v14
	v_div_fmas_f32 v14, v14, v21, v19
	v_div_fixup_f32 v14, v14, v15, v16
	v_mul_f32_e32 v15, v11, v11
	v_mov_b32_e32 v21, 0xbab64f3b
	v_mov_b32_e32 v19, 0x3c0881c4
	v_fmac_f32_e32 v21, 0x37d75334, v15
	v_mov_b32_e32 v22, 0x3d2aabf7
	v_fmac_f32_e32 v19, 0xb94c1982, v15
	v_mov_b32_e32 v20, 0xbe2aaa9d
	v_fma_f32 v21, v15, v21, v22
	v_fma_f32 v19, v15, v19, v20
	v_fma_f32 v21, v15, v21, v23
	v_mul_f32_e32 v19, v15, v19
	v_fma_f32 v15, v15, v21, 1.0
	v_and_b32_e32 v21, 1, v10
	v_fmac_f32_e32 v11, v11, v19
	v_cmp_eq_u32_e32 vcc, 0, v21
	v_lshlrev_b32_e32 v10, 30, v10
	v_cndmask_b32_e64 v11, -v11, v15, vcc
	v_and_b32_e32 v10, 0x80000000, v10
	v_xor_b32_e32 v10, v10, v11
	v_div_scale_f32 v11, s[0:1], v7, v7, s4
	v_rcp_f32_e32 v15, v11
	s_movk_i32 s2, 0x1f8
	v_cmp_class_f32_e64 s[0:1], v5, s2
	v_mov_b32_e32 v16, 0x3c0881c4
	v_fma_f32 v24, -v11, v15, 1.0
	v_fmac_f32_e32 v15, v24, v15
	v_div_scale_f32 v24, vcc, s4, v7, s4
	v_mul_f32_e32 v25, v24, v15
	v_fma_f32 v26, -v11, v25, v24
	v_fmac_f32_e32 v25, v26, v15
	v_fma_f32 v11, -v11, v25, v24
	v_div_scale_f32 v24, s[2:3], v17, v17, v18
	v_rcp_f32_e32 v26, v24
	v_div_fmas_f32 v11, v11, v15, v25
	v_div_fixup_f32 v11, v11, v7, s4
	v_mov_b32_e32 v19, 0xbab64f3b
	v_fma_f32 v15, -v24, v26, 1.0
	v_fmac_f32_e32 v26, v15, v26
	v_div_scale_f32 v15, vcc, v18, v17, v18
	v_mul_f32_e32 v25, v15, v26
	v_fma_f32 v27, -v24, v25, v15
	v_fmac_f32_e32 v25, v27, v26
	v_fma_f32 v15, -v24, v25, v15
	v_div_fmas_f32 v15, v15, v26, v25
	v_div_fixup_f32 v15, v15, v17, v18
	v_mul_f32_e32 v11, v11, v15
	v_mul_f32_e32 v15, v13, v13
	v_fmac_f32_e32 v16, 0xb94c1982, v15
	v_fmac_f32_e32 v20, v15, v16
	;; [unrolled: 1-line block ×3, first 2 shown]
	v_mul_f32_e32 v16, v15, v20
	v_fmac_f32_e32 v22, v15, v19
	v_fmac_f32_e32 v13, v13, v16
	;; [unrolled: 1-line block ×3, first 2 shown]
	v_and_b32_e32 v16, 1, v12
	v_lshlrev_b32_e32 v12, 30, v12
	v_fma_f32 v15, v15, v23, 1.0
	v_cmp_eq_u32_e32 vcc, 0, v16
	v_and_b32_e32 v12, 0x80000000, v12
	v_xor_b32_e32 v5, v9, v5
	v_cndmask_b32_e32 v13, v15, v13, vcc
	v_xor_b32_e32 v5, v5, v12
	v_mov_b32_e32 v21, 0x7fc00000
	v_xor_b32_e32 v5, v5, v13
	v_cndmask_b32_e64 v10, v21, v10, s[0:1]
	v_cndmask_b32_e64 v5, v21, v5, s[0:1]
	s_mov_b32 s0, 0xf800000
	v_mul_f32_e32 v9, 0x4f800000, v7
	v_cmp_gt_f32_e32 vcc, s0, v7
	v_cndmask_b32_e32 v7, v7, v9, vcc
	v_sqrt_f32_e32 v9, v7
	v_mul_f32_e32 v5, v11, v5
	v_fmac_f32_e32 v5, v14, v10
	v_mul_f32_e32 v5, 0x3f4c422a, v5
	v_add_u32_e32 v10, -1, v9
	v_fma_f32 v11, -v10, v9, v7
	v_cmp_ge_f32_e64 s[0:1], 0, v11
	v_add_u32_e32 v11, 1, v9
	v_cndmask_b32_e64 v10, v9, v10, s[0:1]
	v_fma_f32 v9, -v11, v9, v7
	v_cmp_lt_f32_e64 s[0:1], 0, v9
	v_cndmask_b32_e64 v9, v10, v11, s[0:1]
	v_mul_f32_e32 v10, 0x37800000, v9
	v_cndmask_b32_e32 v9, v9, v10, vcc
	v_mov_b32_e32 v10, 0x260
	v_cmp_class_f32_e32 vcc, v7, v10
	v_cndmask_b32_e32 v7, v9, v7, vcc
	v_div_scale_f32 v9, s[0:1], v7, v7, v5
	v_rcp_f32_e32 v10, v9
	v_fma_f32 v11, -v9, v10, 1.0
	v_fmac_f32_e32 v10, v11, v10
	v_div_scale_f32 v11, vcc, v5, v7, v5
	v_mul_f32_e32 v12, v11, v10
	v_fma_f32 v13, -v9, v12, v11
	v_fmac_f32_e32 v12, v13, v10
	v_fma_f32 v9, -v9, v12, v11
	v_div_fmas_f32 v9, v9, v10, v12
	v_div_fixup_f32 v5, v9, v7, v5
.LBB19_122:
	s_or_b64 exec, exec, s[6:7]
	global_load_dword v7, v8, s[10:11]
	s_mov_b32 s0, 0x40a00000
                                        ; implicit-def: $vgpr9
	s_waitcnt vmcnt(0)
	v_cmp_gt_f32_e32 vcc, 0, v7
	v_cndmask_b32_e64 v7, v7, -v7, vcc
	v_cmp_ge_f32_e32 vcc, s0, v7
	s_and_saveexec_b64 s[0:1], vcc
	s_xor_b64 s[0:1], exec, s[0:1]
	s_cbranch_execz .LBB19_128
; %bb.123:
	s_mov_b32 s2, 0x3727c5ac
	v_cmp_ngt_f32_e32 vcc, s2, v7
	v_mul_f32_e32 v8, v7, v7
                                        ; implicit-def: $vgpr9
	s_and_saveexec_b64 s[2:3], vcc
	s_xor_b64 s[2:3], exec, s[2:3]
	s_cbranch_execz .LBB19_125
; %bb.124:
	v_mov_b32_e32 v7, 0x43f9c815
	v_fmac_f32_e32 v7, 0, v8
	v_mov_b32_e32 v9, 0x4829b65a
	v_fmac_f32_e32 v9, v8, v7
	;; [unrolled: 2-line block ×4, first 2 shown]
	s_mov_b32 s4, 0xcf8ee29d
	v_mul_f32_e32 v10, 0, v8
	v_mul_f32_e32 v11, v8, v9
	s_mov_b32 s5, 0x53f5f59c
	v_pk_add_f32 v[10:11], v[10:11], s[4:5]
	s_mov_b32 s4, 0x53e3ba8e
	s_mov_b32 s5, 0x578d3514
	v_pk_fma_f32 v[10:11], v[8:9], v[10:11], s[4:5] op_sel_hi:[0,1,1]
	s_mov_b32 s4, 0xd762b0a7
	s_mov_b32 s5, 0x5ae20a0c
	v_pk_fma_f32 v[10:11], v[8:9], v[10:11], s[4:5] op_sel_hi:[0,1,1]
	;; [unrolled: 3-line block ×3, first 2 shown]
	s_mov_b32 s4, 0xc0b90fdc
	s_mov_b32 s5, 0xc1f3c525
	v_pk_add_f32 v[8:9], v[8:9], s[4:5] op_sel_hi:[0,1]
	v_mul_f32_e32 v7, v8, v9
	v_mul_f32_e32 v7, v7, v10
	v_div_scale_f32 v8, s[4:5], v11, v11, v7
	v_rcp_f32_e32 v9, v8
	v_fma_f32 v10, -v8, v9, 1.0
	v_fmac_f32_e32 v9, v10, v9
	v_div_scale_f32 v10, vcc, v7, v11, v7
	v_mul_f32_e32 v12, v10, v9
	v_fma_f32 v13, -v8, v12, v10
	v_fmac_f32_e32 v12, v13, v9
	v_fma_f32 v8, -v8, v12, v10
	v_div_fmas_f32 v8, v8, v9, v12
	v_div_fixup_f32 v9, v8, v11, v7
                                        ; implicit-def: $vgpr8
.LBB19_125:
	s_andn2_saveexec_b64 s[2:3], s[2:3]
; %bb.126:
	s_mov_b32 s4, 0xbe800000
	v_fma_f32 v9, v8, s4, 1.0
; %bb.127:
	s_or_b64 exec, exec, s[2:3]
                                        ; implicit-def: $vgpr7
.LBB19_128:
	s_andn2_saveexec_b64 s[6:7], s[0:1]
	s_cbranch_execz .LBB19_138
; %bb.129:
	v_add_f32_e32 v8, 0xbf490fdb, v7
	v_and_b32_e32 v9, 0x7fffffff, v8
	s_brev_b32 s0, 18
	v_cmp_nlt_f32_e64 s[10:11], |v8|, s0
	v_lshrrev_b32_e32 v14, 23, v9
                                        ; implicit-def: $vgpr10
                                        ; implicit-def: $vgpr11
	s_and_saveexec_b64 s[0:1], s[10:11]
	s_xor_b64 s[12:13], exec, s[0:1]
	s_cbranch_execz .LBB19_131
; %bb.130:
	v_add_u32_e32 v10, 0xffffff88, v14
	v_not_b32_e32 v12, 63
	v_cmp_lt_u32_e32 vcc, 63, v10
	v_cndmask_b32_e32 v12, 0, v12, vcc
	v_add_u32_e32 v10, v12, v10
	v_not_b32_e32 v12, 31
	v_cmp_lt_u32_e64 s[0:1], 31, v10
	v_cndmask_b32_e64 v13, 0, v12, s[0:1]
	v_add_u32_e32 v10, v13, v10
	v_cmp_lt_u32_e64 s[2:3], 31, v10
	v_cndmask_b32_e64 v12, 0, v12, s[2:3]
	v_add_u32_e32 v15, v12, v10
	v_and_b32_e32 v10, 0x7fffff, v9
	v_or_b32_e32 v26, 0x800000, v10
	s_mov_b32 s4, 0xfe5163ab
	v_mad_u64_u32 v[12:13], s[4:5], v26, s4, 0
	v_mov_b32_e32 v11, 0
	v_mov_b32_e32 v10, v13
	s_mov_b32 s4, 0x3c439041
	v_mad_u64_u32 v[16:17], s[4:5], v26, s4, v[10:11]
	v_mov_b32_e32 v10, v17
	s_mov_b32 s4, 0xdb629599
	v_mad_u64_u32 v[18:19], s[4:5], v26, s4, v[10:11]
	;; [unrolled: 3-line block ×6, first 2 shown]
	v_cndmask_b32_e32 v13, v24, v20, vcc
	v_cndmask_b32_e32 v10, v10, v22, vcc
	;; [unrolled: 1-line block ×3, first 2 shown]
	v_cndmask_b32_e64 v17, v10, v13, s[0:1]
	v_cndmask_b32_e64 v10, v11, v10, s[0:1]
	v_cndmask_b32_e32 v11, v22, v18, vcc
	v_cndmask_b32_e64 v13, v13, v11, s[0:1]
	v_sub_u32_e32 v19, 32, v15
	v_cmp_eq_u32_e64 s[4:5], 0, v15
	v_cndmask_b32_e32 v15, v20, v16, vcc
	v_cndmask_b32_e64 v10, v10, v17, s[2:3]
	v_cndmask_b32_e64 v17, v17, v13, s[2:3]
	;; [unrolled: 1-line block ×3, first 2 shown]
	v_alignbit_b32 v21, v10, v17, v19
	v_cndmask_b32_e64 v13, v13, v11, s[2:3]
	v_cndmask_b32_e64 v10, v21, v10, s[4:5]
	v_alignbit_b32 v16, v17, v13, v19
	v_cndmask_b32_e64 v16, v16, v17, s[4:5]
	v_bfe_u32 v21, v10, 29, 1
	v_cndmask_b32_e32 v12, v18, v12, vcc
	v_alignbit_b32 v17, v10, v16, 30
	v_sub_u32_e32 v22, 0, v21
	v_cndmask_b32_e64 v12, v15, v12, s[0:1]
	v_xor_b32_e32 v23, v17, v22
	v_cndmask_b32_e64 v11, v11, v12, s[2:3]
	v_alignbit_b32 v12, v13, v11, v19
	v_ffbh_u32_e32 v15, v23
	v_cndmask_b32_e64 v12, v12, v13, s[4:5]
	v_add_u32_e32 v15, 1, v15
	v_cmp_ne_u32_e32 vcc, v17, v22
	v_alignbit_b32 v13, v16, v12, 30
	v_cndmask_b32_e32 v15, 33, v15, vcc
	v_alignbit_b32 v11, v12, v11, 30
	v_xor_b32_e32 v13, v13, v22
	v_sub_u32_e32 v16, 32, v15
	v_xor_b32_e32 v11, v11, v22
	v_alignbit_b32 v17, v23, v13, v16
	v_alignbit_b32 v11, v13, v11, v16
	v_alignbit_b32 v12, v17, v11, 9
	v_ffbh_u32_e32 v13, v12
	v_min_u32_e32 v13, 32, v13
	v_lshrrev_b32_e32 v20, 29, v10
	v_sub_u32_e32 v16, 31, v13
	v_alignbit_b32 v11, v12, v11, v16
	v_lshlrev_b32_e32 v12, 31, v20
	v_or_b32_e32 v16, 0x33800000, v12
	v_add_lshl_u32 v13, v13, v15, 23
	v_lshrrev_b32_e32 v11, 9, v11
	v_sub_u32_e32 v13, v16, v13
	v_or_b32_e32 v11, v13, v11
	v_alignbit_b32 v13, v15, v17, 9
	v_or_b32_e32 v12, v13, v12
	v_xor_b32_e32 v12, 1.0, v12
	s_mov_b32 s0, 0x3fc90fda
	v_mul_f32_e32 v13, 0x3fc90fda, v12
	v_fma_f32 v15, v12, s0, -v13
	v_fmac_f32_e32 v15, 0x33a22168, v12
	v_fmac_f32_e32 v15, 0x3fc90fda, v11
	v_lshrrev_b32_e32 v10, 30, v10
	v_add_f32_e32 v11, v13, v15
	v_add_u32_e32 v10, v21, v10
	s_andn2_saveexec_b64 s[0:1], s[12:13]
	s_branch .LBB19_132
.LBB19_131:
	s_andn2_saveexec_b64 s[0:1], s[12:13]
.LBB19_132:
	s_mov_b32 s2, 0x3f22f983
	v_mul_f32_e64 v10, |v8|, s2
	v_rndne_f32_e32 v12, v10
	s_mov_b32 s2, 0xbfc90fda
	v_cvt_i32_f32_e32 v10, v12
	v_fma_f32 v11, v12, s2, |v8|
	v_fmac_f32_e32 v11, 0xb3a22168, v12
	v_fmac_f32_e32 v11, 0xa7c234c4, v12
; %bb.133:
	s_or_b64 exec, exec, s[0:1]
                                        ; implicit-def: $vgpr12
                                        ; implicit-def: $vgpr13
	s_and_saveexec_b64 s[0:1], s[10:11]
	s_xor_b64 s[10:11], exec, s[0:1]
	s_cbranch_execz .LBB19_135
; %bb.134:
	v_add_u32_e32 v12, 0xffffff88, v14
	v_not_b32_e32 v14, 63
	v_cmp_lt_u32_e32 vcc, 63, v12
	v_cndmask_b32_e32 v14, 0, v14, vcc
	v_add_u32_e32 v12, v14, v12
	v_not_b32_e32 v14, 31
	v_cmp_lt_u32_e64 s[0:1], 31, v12
	v_cndmask_b32_e64 v15, 0, v14, s[0:1]
	v_add_u32_e32 v12, v15, v12
	v_cmp_lt_u32_e64 s[2:3], 31, v12
	v_cndmask_b32_e64 v14, 0, v14, s[2:3]
	v_add_u32_e32 v26, v14, v12
	v_and_b32_e32 v12, 0x7fffff, v9
	v_or_b32_e32 v27, 0x800000, v12
	s_mov_b32 s4, 0xfe5163ab
	v_mad_u64_u32 v[14:15], s[4:5], v27, s4, 0
	v_mov_b32_e32 v13, 0
	v_mov_b32_e32 v12, v15
	s_mov_b32 s4, 0x3c439041
	v_mad_u64_u32 v[16:17], s[4:5], v27, s4, v[12:13]
	v_mov_b32_e32 v12, v17
	s_mov_b32 s4, 0xdb629599
	v_mad_u64_u32 v[18:19], s[4:5], v27, s4, v[12:13]
	;; [unrolled: 3-line block ×6, first 2 shown]
	v_cndmask_b32_e32 v15, v24, v20, vcc
	v_cndmask_b32_e32 v12, v12, v22, vcc
	;; [unrolled: 1-line block ×3, first 2 shown]
	v_cndmask_b32_e64 v17, v12, v15, s[0:1]
	v_cndmask_b32_e64 v12, v13, v12, s[0:1]
	v_cndmask_b32_e32 v13, v22, v18, vcc
	v_cndmask_b32_e64 v15, v15, v13, s[0:1]
	v_cndmask_b32_e32 v16, v20, v16, vcc
	v_cndmask_b32_e64 v12, v12, v17, s[2:3]
	v_cndmask_b32_e64 v17, v17, v15, s[2:3]
	v_sub_u32_e32 v19, 32, v26
	v_cndmask_b32_e64 v13, v13, v16, s[0:1]
	v_alignbit_b32 v21, v12, v17, v19
	v_cmp_eq_u32_e64 s[4:5], 0, v26
	v_cndmask_b32_e64 v15, v15, v13, s[2:3]
	v_cndmask_b32_e64 v12, v21, v12, s[4:5]
	v_alignbit_b32 v20, v17, v15, v19
	v_cndmask_b32_e64 v17, v20, v17, s[4:5]
	v_bfe_u32 v22, v12, 29, 1
	v_cndmask_b32_e32 v14, v18, v14, vcc
	v_alignbit_b32 v20, v12, v17, 30
	v_sub_u32_e32 v23, 0, v22
	v_cndmask_b32_e64 v14, v16, v14, s[0:1]
	v_xor_b32_e32 v24, v20, v23
	v_cndmask_b32_e64 v13, v13, v14, s[2:3]
	v_alignbit_b32 v14, v15, v13, v19
	v_ffbh_u32_e32 v16, v24
	v_cndmask_b32_e64 v14, v14, v15, s[4:5]
	v_add_u32_e32 v16, 1, v16
	v_cmp_ne_u32_e32 vcc, v20, v23
	v_alignbit_b32 v15, v17, v14, 30
	v_cndmask_b32_e32 v16, 33, v16, vcc
	v_alignbit_b32 v13, v14, v13, 30
	v_xor_b32_e32 v15, v15, v23
	v_sub_u32_e32 v17, 32, v16
	v_xor_b32_e32 v13, v13, v23
	v_alignbit_b32 v18, v24, v15, v17
	v_alignbit_b32 v13, v15, v13, v17
	;; [unrolled: 1-line block ×3, first 2 shown]
	v_ffbh_u32_e32 v15, v14
	v_min_u32_e32 v15, 32, v15
	v_lshrrev_b32_e32 v21, 29, v12
	v_sub_u32_e32 v17, 31, v15
	v_alignbit_b32 v13, v14, v13, v17
	v_lshlrev_b32_e32 v14, 31, v21
	v_or_b32_e32 v17, 0x33800000, v14
	v_add_lshl_u32 v15, v15, v16, 23
	v_lshrrev_b32_e32 v13, 9, v13
	v_sub_u32_e32 v15, v17, v15
	v_or_b32_e32 v13, v15, v13
	v_alignbit_b32 v15, v16, v18, 9
	v_or_b32_e32 v14, v15, v14
	v_xor_b32_e32 v14, 1.0, v14
	s_mov_b32 s0, 0x3fc90fda
	v_mul_f32_e32 v15, 0x3fc90fda, v14
	v_fma_f32 v16, v14, s0, -v15
	v_fmac_f32_e32 v16, 0x33a22168, v14
	v_fmac_f32_e32 v16, 0x3fc90fda, v13
	v_lshrrev_b32_e32 v12, 30, v12
	v_add_f32_e32 v13, v15, v16
	v_add_u32_e32 v12, v22, v12
	s_andn2_saveexec_b64 s[0:1], s[10:11]
	s_cbranch_execnz .LBB19_136
	s_branch .LBB19_137
.LBB19_135:
	s_andn2_saveexec_b64 s[0:1], s[10:11]
.LBB19_136:
	s_mov_b32 s2, 0x3f22f983
	v_mul_f32_e64 v12, |v8|, s2
	v_rndne_f32_e32 v14, v12
	s_mov_b32 s2, 0xbfc90fda
	v_cvt_i32_f32_e32 v12, v14
	v_fma_f32 v13, v14, s2, |v8|
	v_fmac_f32_e32 v13, 0xb3a22168, v14
	v_fmac_f32_e32 v13, 0xa7c234c4, v14
.LBB19_137:
	s_or_b64 exec, exec, s[0:1]
	v_mul_f32_e32 v14, v7, v7
	s_mov_b32 s2, 0x41c80000
	v_div_scale_f32 v15, s[0:1], v14, v14, s2
	v_rcp_f32_e32 v16, v15
	v_mov_b32_e32 v23, 0xbf000004
	s_mov_b32 s4, 0xc0a00000
	v_fma_f32 v17, -v15, v16, 1.0
	v_fmac_f32_e32 v16, v17, v16
	v_div_scale_f32 v17, vcc, s2, v14, s2
	v_mul_f32_e32 v18, v17, v16
	v_fma_f32 v19, -v15, v18, v17
	v_fmac_f32_e32 v18, v19, v16
	v_fma_f32 v15, -v15, v18, v17
	v_div_fmas_f32 v15, v15, v16, v18
	v_div_fixup_f32 v14, v15, v14, s2
	v_mov_b32_e32 v15, 0x3a50e985
	v_fmac_f32_e32 v15, 0, v14
	v_mov_b32_e32 v16, 0x3da9a586
	v_fmac_f32_e32 v16, v14, v15
	;; [unrolled: 2-line block ×12, first 2 shown]
	v_fma_f32 v15, v14, v17, 1.0
	v_mov_b32_e32 v17, 0xbc3a3a12
	v_fmac_f32_e32 v17, 0, v14
	v_mov_b32_e32 v18, 0xbfa429da
	v_fmac_f32_e32 v18, v14, v17
	;; [unrolled: 2-line block ×9, first 2 shown]
	v_mov_b32_e32 v19, 0x44561b86
	v_fma_f32 v16, v14, v16, 1.0
	v_fmac_f32_e32 v19, v14, v17
	v_mov_b32_e32 v17, 0x4572a66e
	v_div_scale_f32 v20, s[0:1], v15, v15, v16
	v_fmac_f32_e32 v17, v14, v19
	v_mov_b32_e32 v19, 0x45e243be
	v_rcp_f32_e32 v21, v20
	v_fmac_f32_e32 v19, v14, v17
	v_mov_b32_e32 v17, 0x45b955d1
	v_fmac_f32_e32 v17, v14, v19
	v_mov_b32_e32 v19, 0x4500e17e
	v_fmac_f32_e32 v19, v14, v17
	v_mov_b32_e32 v17, 0x43720178
	v_fmac_f32_e32 v17, v14, v19
	v_fma_f32 v14, -v20, v21, 1.0
	v_fmac_f32_e32 v21, v14, v21
	v_div_scale_f32 v14, vcc, v16, v15, v16
	v_mul_f32_e32 v19, v14, v21
	v_fma_f32 v22, -v20, v19, v14
	v_fmac_f32_e32 v19, v22, v21
	v_fma_f32 v14, -v20, v19, v14
	v_div_fmas_f32 v14, v14, v21, v19
	v_div_fixup_f32 v14, v14, v15, v16
	v_mul_f32_e32 v15, v11, v11
	v_mov_b32_e32 v21, 0xbab64f3b
	v_mov_b32_e32 v19, 0x3c0881c4
	v_fmac_f32_e32 v21, 0x37d75334, v15
	v_mov_b32_e32 v22, 0x3d2aabf7
	v_fmac_f32_e32 v19, 0xb94c1982, v15
	v_mov_b32_e32 v20, 0xbe2aaa9d
	v_fma_f32 v21, v15, v21, v22
	v_fma_f32 v19, v15, v19, v20
	;; [unrolled: 1-line block ×3, first 2 shown]
	v_mul_f32_e32 v19, v15, v19
	v_fma_f32 v15, v15, v21, 1.0
	v_and_b32_e32 v21, 1, v10
	v_fmac_f32_e32 v11, v11, v19
	v_cmp_eq_u32_e32 vcc, 0, v21
	v_lshlrev_b32_e32 v10, 30, v10
	v_cndmask_b32_e64 v11, -v11, v15, vcc
	v_and_b32_e32 v10, 0x80000000, v10
	v_xor_b32_e32 v10, v10, v11
	v_div_scale_f32 v11, s[0:1], v7, v7, s4
	v_rcp_f32_e32 v15, v11
	s_movk_i32 s2, 0x1f8
	v_cmp_class_f32_e64 s[0:1], v8, s2
	v_mov_b32_e32 v16, 0x3c0881c4
	v_fma_f32 v24, -v11, v15, 1.0
	v_fmac_f32_e32 v15, v24, v15
	v_div_scale_f32 v24, vcc, s4, v7, s4
	v_mul_f32_e32 v25, v24, v15
	v_fma_f32 v26, -v11, v25, v24
	v_fmac_f32_e32 v25, v26, v15
	v_fma_f32 v11, -v11, v25, v24
	v_div_scale_f32 v24, s[2:3], v17, v17, v18
	v_rcp_f32_e32 v26, v24
	v_div_fmas_f32 v11, v11, v15, v25
	v_div_fixup_f32 v11, v11, v7, s4
	v_mov_b32_e32 v19, 0xbab64f3b
	v_fma_f32 v15, -v24, v26, 1.0
	v_fmac_f32_e32 v26, v15, v26
	v_div_scale_f32 v15, vcc, v18, v17, v18
	v_mul_f32_e32 v25, v15, v26
	v_fma_f32 v27, -v24, v25, v15
	v_fmac_f32_e32 v25, v27, v26
	v_fma_f32 v15, -v24, v25, v15
	v_div_fmas_f32 v15, v15, v26, v25
	v_div_fixup_f32 v15, v15, v17, v18
	v_mul_f32_e32 v11, v11, v15
	v_mul_f32_e32 v15, v13, v13
	v_fmac_f32_e32 v16, 0xb94c1982, v15
	v_fmac_f32_e32 v20, v15, v16
	;; [unrolled: 1-line block ×3, first 2 shown]
	v_mul_f32_e32 v16, v15, v20
	v_fmac_f32_e32 v22, v15, v19
	v_fmac_f32_e32 v13, v13, v16
	;; [unrolled: 1-line block ×3, first 2 shown]
	v_and_b32_e32 v16, 1, v12
	v_lshlrev_b32_e32 v12, 30, v12
	v_fma_f32 v15, v15, v23, 1.0
	v_cmp_eq_u32_e32 vcc, 0, v16
	v_and_b32_e32 v12, 0x80000000, v12
	v_xor_b32_e32 v8, v9, v8
	v_cndmask_b32_e32 v13, v15, v13, vcc
	v_xor_b32_e32 v8, v8, v12
	v_mov_b32_e32 v21, 0x7fc00000
	v_xor_b32_e32 v8, v8, v13
	v_cndmask_b32_e64 v10, v21, v10, s[0:1]
	v_cndmask_b32_e64 v8, v21, v8, s[0:1]
	s_mov_b32 s0, 0xf800000
	v_mul_f32_e32 v9, 0x4f800000, v7
	v_cmp_gt_f32_e32 vcc, s0, v7
	v_cndmask_b32_e32 v7, v7, v9, vcc
	v_sqrt_f32_e32 v9, v7
	v_mul_f32_e32 v8, v11, v8
	v_fmac_f32_e32 v8, v14, v10
	v_mul_f32_e32 v8, 0x3f4c422a, v8
	v_add_u32_e32 v10, -1, v9
	v_fma_f32 v11, -v10, v9, v7
	v_cmp_ge_f32_e64 s[0:1], 0, v11
	v_add_u32_e32 v11, 1, v9
	v_cndmask_b32_e64 v10, v9, v10, s[0:1]
	v_fma_f32 v9, -v11, v9, v7
	v_cmp_lt_f32_e64 s[0:1], 0, v9
	v_cndmask_b32_e64 v9, v10, v11, s[0:1]
	v_mul_f32_e32 v10, 0x37800000, v9
	v_cndmask_b32_e32 v9, v9, v10, vcc
	v_mov_b32_e32 v10, 0x260
	v_cmp_class_f32_e32 vcc, v7, v10
	v_cndmask_b32_e32 v7, v9, v7, vcc
	v_div_scale_f32 v9, s[0:1], v7, v7, v8
	v_rcp_f32_e32 v10, v9
	v_fma_f32 v11, -v9, v10, 1.0
	v_fmac_f32_e32 v10, v11, v10
	v_div_scale_f32 v11, vcc, v8, v7, v8
	v_mul_f32_e32 v12, v11, v10
	v_fma_f32 v13, -v9, v12, v11
	v_fmac_f32_e32 v12, v13, v10
	v_fma_f32 v9, -v9, v12, v11
	v_div_fmas_f32 v9, v9, v10, v12
	v_div_fixup_f32 v9, v9, v7, v8
.LBB19_138:
	s_or_b64 exec, exec, s[6:7]
	global_store_dword v0, v1, s[8:9]
	global_store_dword v2, v3, s[8:9]
	global_store_dword v4, v5, s[8:9]
	global_store_dword v6, v9, s[8:9]
	s_endpgm
.LBB19_139:
	s_mov_b32 s7, s6
	v_pk_mov_b32 v[0:1], s[6:7], s[6:7] op_sel:[0,1]
                                        ; implicit-def: $vgpr2
	v_mov_b32_e32 v3, v4
.LBB19_140:
	s_and_b32 s7, s59, 3
	s_cmp_eq_u32 s7, 0
	s_cbranch_scc1 .LBB19_144
; %bb.141:
	s_lshl_b32 s0, s6, 3
	s_add_u32 s0, s0, s4
	s_addc_u32 s1, s5, 0
	s_add_u32 s0, s0, 0xc4
	s_addc_u32 s1, s1, 0
	s_mul_i32 s2, s6, 12
	s_add_u32 s2, s4, s2
	s_addc_u32 s3, s5, 0
.LBB19_142:                             ; =>This Inner Loop Header: Depth=1
	s_load_dwordx2 s[8:9], s[2:3], 0x4
	s_load_dword s6, s[2:3], 0xc
	s_load_dwordx2 s[10:11], s[0:1], 0x0
	v_mov_b32_e32 v2, v1
	s_add_u32 s2, s2, 12
	s_waitcnt lgkmcnt(0)
	v_mul_hi_u32 v1, s9, v3
	v_add_u32_e32 v1, v3, v1
	v_lshrrev_b32_e32 v1, s6, v1
	s_addc_u32 s3, s3, 0
	v_mul_lo_u32 v5, v1, s8
	s_add_u32 s0, s0, 8
	v_sub_u32_e32 v5, v3, v5
	v_mov_b32_e32 v3, v1
	s_addc_u32 s1, s1, 0
	s_add_i32 s7, s7, -1
	v_mad_u64_u32 v[6:7], s[8:9], v5, s11, v[2:3]
	v_mad_u64_u32 v[0:1], s[8:9], v5, s10, v[0:1]
	s_cmp_lg_u32 s7, 0
	v_mov_b32_e32 v1, v6
	s_cbranch_scc1 .LBB19_142
; %bb.143:
	v_mov_b32_e32 v2, v1
.LBB19_144:
	s_cbranch_execnz .LBB19_147
.LBB19_145:
	s_waitcnt lgkmcnt(0)
	v_mul_hi_u32 v0, s37, v4
	v_add_u32_e32 v0, v4, v0
	v_lshrrev_b32_e32 v1, s38, v0
	v_mul_lo_u32 v0, v1, s36
	v_sub_u32_e32 v0, v4, v0
	v_mul_lo_u32 v2, v0, s29
	s_andn2_b64 vcc, exec, s[44:45]
	v_mul_lo_u32 v0, v0, s28
	s_cbranch_vccnz .LBB19_147
; %bb.146:
	v_mul_hi_u32 v3, s42, v1
	v_add_u32_e32 v3, v1, v3
	v_lshrrev_b32_e32 v3, s43, v3
	v_mul_lo_u32 v3, v3, s39
	v_sub_u32_e32 v3, v1, v3
	v_mad_u64_u32 v[0:1], s[0:1], v3, s30, v[0:1]
	v_mad_u64_u32 v[2:3], s[0:1], v3, s31, v[2:3]
.LBB19_147:
	s_waitcnt lgkmcnt(0)
	global_load_dword v1, v2, s[26:27]
	s_mov_b32 s0, 0x40a00000
                                        ; implicit-def: $vgpr3
	s_waitcnt vmcnt(0)
	v_cmp_gt_f32_e32 vcc, 0, v1
	v_cndmask_b32_e64 v1, v1, -v1, vcc
	v_cmp_ge_f32_e32 vcc, s0, v1
	v_mul_f32_e32 v2, v1, v1
	s_and_saveexec_b64 s[0:1], vcc
	s_xor_b64 s[0:1], exec, s[0:1]
	s_cbranch_execz .LBB19_153
; %bb.148:
	s_mov_b32 s2, 0x3727c5ac
	v_cmp_ngt_f32_e32 vcc, s2, v1
                                        ; implicit-def: $vgpr3
	s_and_saveexec_b64 s[2:3], vcc
	s_xor_b64 s[2:3], exec, s[2:3]
	s_cbranch_execz .LBB19_150
; %bb.149:
	v_mov_b32_e32 v1, 0x43f9c815
	v_fmac_f32_e32 v1, 0, v2
	v_mov_b32_e32 v3, 0x4829b65a
	v_fmac_f32_e32 v3, v2, v1
	;; [unrolled: 2-line block ×4, first 2 shown]
	s_mov_b32 s6, 0xcf8ee29d
	v_mul_f32_e32 v6, 0, v2
	v_mul_f32_e32 v7, v2, v3
	s_mov_b32 s7, 0x53f5f59c
	v_pk_add_f32 v[6:7], v[6:7], s[6:7]
	s_mov_b32 s6, 0x53e3ba8e
	s_mov_b32 s7, 0x578d3514
	v_pk_fma_f32 v[6:7], v[2:3], v[6:7], s[6:7] op_sel_hi:[0,1,1]
	s_mov_b32 s6, 0xd762b0a7
	s_mov_b32 s7, 0x5ae20a0c
	v_pk_fma_f32 v[6:7], v[2:3], v[6:7], s[6:7] op_sel_hi:[0,1,1]
	;; [unrolled: 3-line block ×3, first 2 shown]
	s_mov_b32 s6, 0xc0b90fdc
	s_mov_b32 s7, 0xc1f3c525
	v_pk_add_f32 v[2:3], v[2:3], s[6:7] op_sel_hi:[0,1]
	v_mul_f32_e32 v1, v2, v3
	v_mul_f32_e32 v1, v1, v6
	v_div_scale_f32 v2, s[6:7], v7, v7, v1
	v_rcp_f32_e32 v3, v2
	v_fma_f32 v5, -v2, v3, 1.0
	v_fmac_f32_e32 v3, v5, v3
	v_div_scale_f32 v5, vcc, v1, v7, v1
	v_mul_f32_e32 v6, v5, v3
	v_fma_f32 v8, -v2, v6, v5
	v_fmac_f32_e32 v6, v8, v3
	v_fma_f32 v2, -v2, v6, v5
	v_div_fmas_f32 v2, v2, v3, v6
	v_div_fixup_f32 v3, v2, v7, v1
                                        ; implicit-def: $vgpr2
.LBB19_150:
	s_andn2_saveexec_b64 s[2:3], s[2:3]
; %bb.151:
	s_mov_b32 s6, 0xbe800000
	v_fma_f32 v3, v2, s6, 1.0
; %bb.152:
	s_or_b64 exec, exec, s[2:3]
                                        ; implicit-def: $vgpr2
                                        ; implicit-def: $vgpr1
.LBB19_153:
	s_andn2_saveexec_b64 s[8:9], s[0:1]
	s_cbranch_execz .LBB19_163
; %bb.154:
	v_add_f32_e32 v3, 0xbf490fdb, v1
	s_brev_b32 s0, 18
	v_and_b32_e32 v5, 0x7fffffff, v3
	v_cmp_nlt_f32_e64 s[10:11], |v3|, s0
                                        ; implicit-def: $vgpr6
                                        ; implicit-def: $vgpr7
	s_and_saveexec_b64 s[0:1], s[10:11]
	s_xor_b64 s[12:13], exec, s[0:1]
	s_cbranch_execz .LBB19_156
; %bb.155:
	v_lshrrev_b32_e32 v6, 23, v5
	v_add_u32_e32 v6, 0xffffff88, v6
	v_not_b32_e32 v8, 63
	v_cmp_lt_u32_e32 vcc, 63, v6
	v_cndmask_b32_e32 v8, 0, v8, vcc
	v_add_u32_e32 v6, v8, v6
	v_not_b32_e32 v8, 31
	v_cmp_lt_u32_e64 s[0:1], 31, v6
	v_cndmask_b32_e64 v9, 0, v8, s[0:1]
	v_add_u32_e32 v6, v9, v6
	v_cmp_lt_u32_e64 s[2:3], 31, v6
	v_cndmask_b32_e64 v8, 0, v8, s[2:3]
	v_add_u32_e32 v20, v8, v6
	v_and_b32_e32 v6, 0x7fffff, v5
	v_or_b32_e32 v21, 0x800000, v6
	s_mov_b32 s6, 0xfe5163ab
	v_mad_u64_u32 v[8:9], s[6:7], v21, s6, 0
	v_mov_b32_e32 v7, 0
	v_mov_b32_e32 v6, v9
	s_mov_b32 s6, 0x3c439041
	v_mad_u64_u32 v[10:11], s[6:7], v21, s6, v[6:7]
	v_mov_b32_e32 v6, v11
	s_mov_b32 s6, 0xdb629599
	v_mad_u64_u32 v[12:13], s[6:7], v21, s6, v[6:7]
	;; [unrolled: 3-line block ×6, first 2 shown]
	v_cndmask_b32_e32 v9, v18, v14, vcc
	v_cndmask_b32_e32 v6, v6, v16, vcc
	;; [unrolled: 1-line block ×3, first 2 shown]
	v_cndmask_b32_e64 v11, v6, v9, s[0:1]
	v_cndmask_b32_e64 v6, v7, v6, s[0:1]
	v_cndmask_b32_e32 v7, v16, v12, vcc
	v_cndmask_b32_e64 v9, v9, v7, s[0:1]
	v_cndmask_b32_e32 v10, v14, v10, vcc
	v_cndmask_b32_e64 v6, v6, v11, s[2:3]
	v_cndmask_b32_e64 v11, v11, v9, s[2:3]
	v_sub_u32_e32 v13, 32, v20
	v_cndmask_b32_e64 v7, v7, v10, s[0:1]
	v_alignbit_b32 v15, v6, v11, v13
	v_cmp_eq_u32_e64 s[6:7], 0, v20
	v_cndmask_b32_e64 v9, v9, v7, s[2:3]
	v_cndmask_b32_e64 v6, v15, v6, s[6:7]
	v_alignbit_b32 v14, v11, v9, v13
	v_cndmask_b32_e64 v11, v14, v11, s[6:7]
	v_bfe_u32 v16, v6, 29, 1
	v_cndmask_b32_e32 v8, v12, v8, vcc
	v_alignbit_b32 v14, v6, v11, 30
	v_sub_u32_e32 v17, 0, v16
	v_cndmask_b32_e64 v8, v10, v8, s[0:1]
	v_xor_b32_e32 v18, v14, v17
	v_cndmask_b32_e64 v7, v7, v8, s[2:3]
	v_alignbit_b32 v8, v9, v7, v13
	v_ffbh_u32_e32 v10, v18
	v_cndmask_b32_e64 v8, v8, v9, s[6:7]
	v_add_u32_e32 v10, 1, v10
	v_cmp_ne_u32_e32 vcc, v14, v17
	v_alignbit_b32 v9, v11, v8, 30
	v_cndmask_b32_e32 v10, 33, v10, vcc
	v_alignbit_b32 v7, v8, v7, 30
	v_xor_b32_e32 v9, v9, v17
	v_sub_u32_e32 v11, 32, v10
	v_xor_b32_e32 v7, v7, v17
	v_alignbit_b32 v12, v18, v9, v11
	v_alignbit_b32 v7, v9, v7, v11
	;; [unrolled: 1-line block ×3, first 2 shown]
	v_ffbh_u32_e32 v9, v8
	v_min_u32_e32 v9, 32, v9
	v_lshrrev_b32_e32 v15, 29, v6
	v_sub_u32_e32 v11, 31, v9
	v_alignbit_b32 v7, v8, v7, v11
	v_lshlrev_b32_e32 v8, 31, v15
	v_or_b32_e32 v11, 0x33800000, v8
	v_add_lshl_u32 v9, v9, v10, 23
	v_lshrrev_b32_e32 v7, 9, v7
	v_sub_u32_e32 v9, v11, v9
	v_or_b32_e32 v7, v9, v7
	v_alignbit_b32 v9, v10, v12, 9
	v_or_b32_e32 v8, v9, v8
	v_xor_b32_e32 v8, 1.0, v8
	s_mov_b32 s0, 0x3fc90fda
	v_mul_f32_e32 v9, 0x3fc90fda, v8
	v_fma_f32 v10, v8, s0, -v9
	v_fmac_f32_e32 v10, 0x33a22168, v8
	v_fmac_f32_e32 v10, 0x3fc90fda, v7
	v_lshrrev_b32_e32 v6, 30, v6
	v_add_f32_e32 v7, v9, v10
	v_add_u32_e32 v6, v16, v6
	s_andn2_saveexec_b64 s[0:1], s[12:13]
	s_branch .LBB19_157
.LBB19_156:
	s_andn2_saveexec_b64 s[0:1], s[12:13]
.LBB19_157:
	s_mov_b32 s2, 0x3f22f983
	v_mul_f32_e64 v6, |v3|, s2
	v_rndne_f32_e32 v8, v6
	s_mov_b32 s2, 0xbfc90fda
	v_cvt_i32_f32_e32 v6, v8
	v_fma_f32 v7, v8, s2, |v3|
	v_fmac_f32_e32 v7, 0xb3a22168, v8
	v_fmac_f32_e32 v7, 0xa7c234c4, v8
; %bb.158:
	s_or_b64 exec, exec, s[0:1]
                                        ; implicit-def: $vgpr8
                                        ; implicit-def: $vgpr9
	s_and_saveexec_b64 s[0:1], s[10:11]
	s_xor_b64 s[10:11], exec, s[0:1]
	s_cbranch_execz .LBB19_160
; %bb.159:
	v_lshrrev_b32_e32 v8, 23, v5
	v_add_u32_e32 v8, 0xffffff88, v8
	v_not_b32_e32 v10, 63
	v_cmp_lt_u32_e32 vcc, 63, v8
	v_cndmask_b32_e32 v10, 0, v10, vcc
	v_add_u32_e32 v8, v10, v8
	v_not_b32_e32 v10, 31
	v_cmp_lt_u32_e64 s[0:1], 31, v8
	v_cndmask_b32_e64 v11, 0, v10, s[0:1]
	v_add_u32_e32 v8, v11, v8
	v_cmp_lt_u32_e64 s[2:3], 31, v8
	v_cndmask_b32_e64 v10, 0, v10, s[2:3]
	v_add_u32_e32 v22, v10, v8
	v_and_b32_e32 v8, 0x7fffff, v5
	v_or_b32_e32 v23, 0x800000, v8
	s_mov_b32 s6, 0xfe5163ab
	v_mad_u64_u32 v[10:11], s[6:7], v23, s6, 0
	v_mov_b32_e32 v9, 0
	v_mov_b32_e32 v8, v11
	s_mov_b32 s6, 0x3c439041
	v_mad_u64_u32 v[12:13], s[6:7], v23, s6, v[8:9]
	v_mov_b32_e32 v8, v13
	s_mov_b32 s6, 0xdb629599
	v_mad_u64_u32 v[14:15], s[6:7], v23, s6, v[8:9]
	;; [unrolled: 3-line block ×6, first 2 shown]
	v_cndmask_b32_e32 v11, v20, v16, vcc
	v_cndmask_b32_e32 v8, v8, v18, vcc
	;; [unrolled: 1-line block ×3, first 2 shown]
	v_cndmask_b32_e64 v13, v8, v11, s[0:1]
	v_cndmask_b32_e64 v8, v9, v8, s[0:1]
	v_cndmask_b32_e32 v9, v18, v14, vcc
	v_cndmask_b32_e64 v11, v11, v9, s[0:1]
	v_cndmask_b32_e32 v12, v16, v12, vcc
	v_cndmask_b32_e64 v8, v8, v13, s[2:3]
	v_cndmask_b32_e64 v13, v13, v11, s[2:3]
	v_sub_u32_e32 v15, 32, v22
	v_cndmask_b32_e64 v9, v9, v12, s[0:1]
	v_alignbit_b32 v17, v8, v13, v15
	v_cmp_eq_u32_e64 s[6:7], 0, v22
	v_cndmask_b32_e64 v11, v11, v9, s[2:3]
	v_cndmask_b32_e64 v8, v17, v8, s[6:7]
	v_alignbit_b32 v16, v13, v11, v15
	v_cndmask_b32_e64 v13, v16, v13, s[6:7]
	v_bfe_u32 v18, v8, 29, 1
	v_cndmask_b32_e32 v10, v14, v10, vcc
	v_alignbit_b32 v16, v8, v13, 30
	v_sub_u32_e32 v19, 0, v18
	v_cndmask_b32_e64 v10, v12, v10, s[0:1]
	v_xor_b32_e32 v20, v16, v19
	v_cndmask_b32_e64 v9, v9, v10, s[2:3]
	v_alignbit_b32 v10, v11, v9, v15
	v_ffbh_u32_e32 v12, v20
	v_cndmask_b32_e64 v10, v10, v11, s[6:7]
	v_add_u32_e32 v12, 1, v12
	v_cmp_ne_u32_e32 vcc, v16, v19
	v_alignbit_b32 v11, v13, v10, 30
	v_cndmask_b32_e32 v12, 33, v12, vcc
	v_alignbit_b32 v9, v10, v9, 30
	v_xor_b32_e32 v11, v11, v19
	v_sub_u32_e32 v13, 32, v12
	v_xor_b32_e32 v9, v9, v19
	v_alignbit_b32 v14, v20, v11, v13
	v_alignbit_b32 v9, v11, v9, v13
	;; [unrolled: 1-line block ×3, first 2 shown]
	v_ffbh_u32_e32 v11, v10
	v_min_u32_e32 v11, 32, v11
	v_lshrrev_b32_e32 v17, 29, v8
	v_sub_u32_e32 v13, 31, v11
	v_alignbit_b32 v9, v10, v9, v13
	v_lshlrev_b32_e32 v10, 31, v17
	v_or_b32_e32 v13, 0x33800000, v10
	v_add_lshl_u32 v11, v11, v12, 23
	v_lshrrev_b32_e32 v9, 9, v9
	v_sub_u32_e32 v11, v13, v11
	v_or_b32_e32 v9, v11, v9
	v_alignbit_b32 v11, v12, v14, 9
	v_or_b32_e32 v10, v11, v10
	v_xor_b32_e32 v10, 1.0, v10
	s_mov_b32 s0, 0x3fc90fda
	v_mul_f32_e32 v11, 0x3fc90fda, v10
	v_fma_f32 v12, v10, s0, -v11
	v_fmac_f32_e32 v12, 0x33a22168, v10
	v_fmac_f32_e32 v12, 0x3fc90fda, v9
	v_lshrrev_b32_e32 v8, 30, v8
	v_add_f32_e32 v9, v11, v12
	v_add_u32_e32 v8, v18, v8
	s_andn2_saveexec_b64 s[0:1], s[10:11]
	s_cbranch_execnz .LBB19_161
	s_branch .LBB19_162
.LBB19_160:
	s_andn2_saveexec_b64 s[0:1], s[10:11]
.LBB19_161:
	s_mov_b32 s2, 0x3f22f983
	v_mul_f32_e64 v8, |v3|, s2
	v_rndne_f32_e32 v10, v8
	s_mov_b32 s2, 0xbfc90fda
	v_cvt_i32_f32_e32 v8, v10
	v_fma_f32 v9, v10, s2, |v3|
	v_fmac_f32_e32 v9, 0xb3a22168, v10
	v_fmac_f32_e32 v9, 0xa7c234c4, v10
.LBB19_162:
	s_or_b64 exec, exec, s[0:1]
	s_mov_b32 s2, 0x41c80000
	v_div_scale_f32 v10, s[0:1], v2, v2, s2
	v_rcp_f32_e32 v11, v10
	v_div_scale_f32 v12, vcc, s2, v2, s2
	v_mov_b32_e32 v18, 0xbf000004
	v_fma_f32 v13, -v10, v11, 1.0
	v_fmac_f32_e32 v11, v13, v11
	v_mul_f32_e32 v13, v12, v11
	v_fma_f32 v14, -v10, v13, v12
	v_fmac_f32_e32 v13, v14, v11
	v_fma_f32 v10, -v10, v13, v12
	v_div_fmas_f32 v10, v10, v11, v13
	v_div_fixup_f32 v2, v10, v2, s2
	v_mov_b32_e32 v10, 0x3a50e985
	v_fmac_f32_e32 v10, 0, v2
	v_mov_b32_e32 v11, 0x3da9a586
	v_fmac_f32_e32 v11, v2, v10
	;; [unrolled: 2-line block ×12, first 2 shown]
	v_fma_f32 v10, v2, v12, 1.0
	v_mov_b32_e32 v12, 0xbc3a3a12
	v_fmac_f32_e32 v12, 0, v2
	v_mov_b32_e32 v13, 0xbfa429da
	v_fmac_f32_e32 v13, v2, v12
	;; [unrolled: 2-line block ×9, first 2 shown]
	v_mov_b32_e32 v14, 0x44561b86
	v_fma_f32 v11, v2, v11, 1.0
	v_fmac_f32_e32 v14, v2, v12
	v_mov_b32_e32 v12, 0x4572a66e
	v_div_scale_f32 v15, s[0:1], v10, v10, v11
	v_fmac_f32_e32 v12, v2, v14
	v_mov_b32_e32 v14, 0x45e243be
	v_rcp_f32_e32 v16, v15
	v_fmac_f32_e32 v14, v2, v12
	v_mov_b32_e32 v12, 0x45b955d1
	v_fmac_f32_e32 v12, v2, v14
	v_mov_b32_e32 v14, 0x4500e17e
	;; [unrolled: 2-line block ×3, first 2 shown]
	v_fmac_f32_e32 v12, v2, v14
	v_fma_f32 v2, -v15, v16, 1.0
	v_fmac_f32_e32 v16, v2, v16
	v_div_scale_f32 v2, vcc, v11, v10, v11
	v_mul_f32_e32 v14, v2, v16
	v_fma_f32 v17, -v15, v14, v2
	v_fmac_f32_e32 v14, v17, v16
	v_fma_f32 v2, -v15, v14, v2
	v_div_fmas_f32 v2, v2, v16, v14
	v_div_fixup_f32 v2, v2, v10, v11
	v_mul_f32_e32 v10, v7, v7
	v_mov_b32_e32 v16, 0xbab64f3b
	v_mov_b32_e32 v14, 0x3c0881c4
	v_fmac_f32_e32 v16, 0x37d75334, v10
	v_mov_b32_e32 v17, 0x3d2aabf7
	v_fmac_f32_e32 v14, 0xb94c1982, v10
	v_mov_b32_e32 v15, 0xbe2aaa9d
	v_fma_f32 v16, v10, v16, v17
	v_fma_f32 v14, v10, v14, v15
	;; [unrolled: 1-line block ×3, first 2 shown]
	v_mul_f32_e32 v14, v10, v14
	v_fma_f32 v10, v10, v16, 1.0
	v_and_b32_e32 v16, 1, v6
	v_fmac_f32_e32 v7, v7, v14
	v_cmp_eq_u32_e32 vcc, 0, v16
	v_lshlrev_b32_e32 v6, 30, v6
	v_cndmask_b32_e64 v7, -v7, v10, vcc
	v_and_b32_e32 v6, 0x80000000, v6
	s_mov_b32 s6, 0xc0a00000
	v_xor_b32_e32 v6, v6, v7
	v_div_scale_f32 v7, s[0:1], v1, v1, s6
	v_rcp_f32_e32 v10, v7
	s_movk_i32 s2, 0x1f8
	v_cmp_class_f32_e64 s[0:1], v3, s2
	v_mov_b32_e32 v11, 0x3c0881c4
	v_fma_f32 v19, -v7, v10, 1.0
	v_fmac_f32_e32 v10, v19, v10
	v_div_scale_f32 v19, vcc, s6, v1, s6
	v_mul_f32_e32 v20, v19, v10
	v_fma_f32 v21, -v7, v20, v19
	v_fmac_f32_e32 v20, v21, v10
	v_fma_f32 v7, -v7, v20, v19
	v_div_scale_f32 v19, s[2:3], v12, v12, v13
	v_rcp_f32_e32 v21, v19
	v_div_fmas_f32 v7, v7, v10, v20
	v_div_fixup_f32 v7, v7, v1, s6
	v_mov_b32_e32 v14, 0xbab64f3b
	v_fma_f32 v10, -v19, v21, 1.0
	v_fmac_f32_e32 v21, v10, v21
	v_div_scale_f32 v10, vcc, v13, v12, v13
	v_mul_f32_e32 v20, v10, v21
	v_fma_f32 v22, -v19, v20, v10
	v_fmac_f32_e32 v20, v22, v21
	v_fma_f32 v10, -v19, v20, v10
	v_div_fmas_f32 v10, v10, v21, v20
	v_div_fixup_f32 v10, v10, v12, v13
	v_mul_f32_e32 v7, v7, v10
	v_mul_f32_e32 v10, v9, v9
	v_fmac_f32_e32 v11, 0xb94c1982, v10
	v_fmac_f32_e32 v15, v10, v11
	;; [unrolled: 1-line block ×3, first 2 shown]
	v_mul_f32_e32 v11, v10, v15
	v_fmac_f32_e32 v17, v10, v14
	v_fmac_f32_e32 v9, v9, v11
	;; [unrolled: 1-line block ×3, first 2 shown]
	v_and_b32_e32 v11, 1, v8
	v_lshlrev_b32_e32 v8, 30, v8
	v_fma_f32 v10, v10, v18, 1.0
	v_cmp_eq_u32_e32 vcc, 0, v11
	v_and_b32_e32 v8, 0x80000000, v8
	v_xor_b32_e32 v3, v5, v3
	v_cndmask_b32_e32 v9, v10, v9, vcc
	v_xor_b32_e32 v3, v3, v8
	v_mov_b32_e32 v16, 0x7fc00000
	v_xor_b32_e32 v3, v3, v9
	v_cndmask_b32_e64 v6, v16, v6, s[0:1]
	v_cndmask_b32_e64 v3, v16, v3, s[0:1]
	s_mov_b32 s0, 0xf800000
	v_mul_f32_e32 v5, 0x4f800000, v1
	v_cmp_gt_f32_e32 vcc, s0, v1
	v_cndmask_b32_e32 v1, v1, v5, vcc
	v_sqrt_f32_e32 v5, v1
	v_mul_f32_e32 v3, v7, v3
	v_fmac_f32_e32 v3, v2, v6
	v_mul_f32_e32 v2, 0x3f4c422a, v3
	v_add_u32_e32 v3, -1, v5
	v_fma_f32 v6, -v3, v5, v1
	v_cmp_ge_f32_e64 s[0:1], 0, v6
	v_add_u32_e32 v6, 1, v5
	v_cndmask_b32_e64 v3, v5, v3, s[0:1]
	v_fma_f32 v5, -v6, v5, v1
	v_cmp_lt_f32_e64 s[0:1], 0, v5
	v_cndmask_b32_e64 v3, v3, v6, s[0:1]
	v_mul_f32_e32 v5, 0x37800000, v3
	v_cndmask_b32_e32 v3, v3, v5, vcc
	v_mov_b32_e32 v5, 0x260
	v_cmp_class_f32_e32 vcc, v1, v5
	v_cndmask_b32_e32 v1, v3, v1, vcc
	v_div_scale_f32 v3, s[0:1], v1, v1, v2
	v_rcp_f32_e32 v5, v3
	v_fma_f32 v6, -v3, v5, 1.0
	v_fmac_f32_e32 v5, v6, v5
	v_div_scale_f32 v6, vcc, v2, v1, v2
	v_mul_f32_e32 v7, v6, v5
	v_fma_f32 v8, -v3, v7, v6
	v_fmac_f32_e32 v7, v8, v5
	v_fma_f32 v3, -v3, v7, v6
	v_div_fmas_f32 v3, v3, v5, v7
	v_div_fixup_f32 v3, v3, v1, v2
.LBB19_163:
	s_or_b64 exec, exec, s[8:9]
	v_add_u32_e32 v4, 0x80, v4
	global_store_dword v0, v3, s[24:25]
	s_or_b64 exec, exec, s[50:51]
	v_cmp_gt_i32_e32 vcc, s57, v4
	s_and_saveexec_b64 s[50:51], vcc
	s_cbranch_execnz .LBB19_17
.LBB19_164:
	s_or_b64 exec, exec, s[50:51]
	v_cmp_gt_i32_e32 vcc, s57, v4
	s_and_saveexec_b64 s[50:51], vcc
	s_cbranch_execz .LBB19_197
.LBB19_165:
	s_andn2_b64 vcc, exec, s[34:35]
	s_cbranch_vccnz .LBB19_171
; %bb.166:
	s_mov_b32 s6, 0
	s_andn2_b64 vcc, exec, s[48:49]
	v_mov_b32_e32 v2, 0
	v_mov_b32_e32 v0, 0
	s_cbranch_vccnz .LBB19_205
; %bb.167:
	s_add_i32 s59, s58, 1
	s_cmp_eq_u32 s56, 2
	s_cbranch_scc1 .LBB19_200
; %bb.168:
	s_and_b32 s6, s59, 28
	s_mov_b32 s7, 0
	v_mov_b32_e32 v0, 0
	s_mov_b64 s[52:53], s[4:5]
	s_mov_b64 s[54:55], s[46:47]
	v_mov_b32_e32 v3, v4
	v_mov_b32_e32 v2, 0
.LBB19_169:                             ; =>This Inner Loop Header: Depth=1
	s_load_dwordx8 s[16:23], s[52:53], 0x4
	s_load_dwordx4 s[0:3], s[52:53], 0x24
	s_load_dwordx8 s[8:15], s[54:55], 0x0
	s_add_u32 s52, s52, 48
	s_addc_u32 s53, s53, 0
	s_waitcnt lgkmcnt(0)
	v_mul_hi_u32 v1, s17, v3
	v_add_u32_e32 v1, v3, v1
	v_lshrrev_b32_e32 v1, s18, v1
	v_mul_lo_u32 v5, v1, s16
	v_mul_hi_u32 v6, s20, v1
	v_sub_u32_e32 v3, v3, v5
	v_add_u32_e32 v5, v1, v6
	v_lshrrev_b32_e32 v5, s21, v5
	v_mul_lo_u32 v7, v5, s19
	v_mul_hi_u32 v8, s23, v5
	v_sub_u32_e32 v1, v1, v7
	v_add_u32_e32 v7, v5, v8
	v_mul_lo_u32 v6, v3, s9
	v_mul_lo_u32 v3, v3, s8
	;; [unrolled: 1-line block ×4, first 2 shown]
	v_lshrrev_b32_e32 v7, s0, v7
	v_add3_u32 v0, v3, v0, v1
	v_mul_hi_u32 v3, s2, v7
	v_add_u32_e32 v3, v7, v3
	v_lshrrev_b32_e32 v3, s3, v3
	s_add_i32 s7, s7, 4
	v_add3_u32 v1, v6, v2, v8
	v_mul_lo_u32 v2, v7, s22
	v_mul_lo_u32 v6, v3, s1
	s_add_u32 s54, s54, 32
	v_sub_u32_e32 v2, v5, v2
	v_sub_u32_e32 v6, v7, v6
	s_addc_u32 s55, s55, 0
	v_mul_lo_u32 v5, v2, s12
	v_mul_lo_u32 v2, v2, s13
	;; [unrolled: 1-line block ×4, first 2 shown]
	s_cmp_eq_u32 s6, s7
	v_add3_u32 v2, v2, v1, v6
	v_add3_u32 v0, v5, v0, v7
	s_cbranch_scc0 .LBB19_169
; %bb.170:
	v_mov_b32_e32 v1, v2
	s_branch .LBB19_201
.LBB19_171:
                                        ; implicit-def: $vgpr2
                                        ; implicit-def: $vgpr0
	s_branch .LBB19_206
.LBB19_172:
	s_mov_b32 s7, s6
	v_pk_mov_b32 v[0:1], s[6:7], s[6:7] op_sel:[0,1]
                                        ; implicit-def: $vgpr2
	v_mov_b32_e32 v3, v4
.LBB19_173:
	s_and_b32 s7, s59, 3
	s_cmp_eq_u32 s7, 0
	s_cbranch_scc1 .LBB19_177
; %bb.174:
	s_lshl_b32 s0, s6, 3
	s_add_u32 s0, s0, s4
	s_addc_u32 s1, s5, 0
	s_add_u32 s0, s0, 0xc4
	s_addc_u32 s1, s1, 0
	s_mul_i32 s2, s6, 12
	s_add_u32 s2, s4, s2
	s_addc_u32 s3, s5, 0
.LBB19_175:                             ; =>This Inner Loop Header: Depth=1
	s_load_dwordx2 s[8:9], s[2:3], 0x4
	s_load_dword s6, s[2:3], 0xc
	s_load_dwordx2 s[10:11], s[0:1], 0x0
	v_mov_b32_e32 v2, v1
	s_add_u32 s2, s2, 12
	s_waitcnt lgkmcnt(0)
	v_mul_hi_u32 v1, s9, v3
	v_add_u32_e32 v1, v3, v1
	v_lshrrev_b32_e32 v1, s6, v1
	s_addc_u32 s3, s3, 0
	v_mul_lo_u32 v5, v1, s8
	s_add_u32 s0, s0, 8
	v_sub_u32_e32 v5, v3, v5
	v_mov_b32_e32 v3, v1
	s_addc_u32 s1, s1, 0
	s_add_i32 s7, s7, -1
	v_mad_u64_u32 v[6:7], s[8:9], v5, s11, v[2:3]
	v_mad_u64_u32 v[0:1], s[8:9], v5, s10, v[0:1]
	s_cmp_lg_u32 s7, 0
	v_mov_b32_e32 v1, v6
	s_cbranch_scc1 .LBB19_175
; %bb.176:
	v_mov_b32_e32 v2, v1
.LBB19_177:
	s_cbranch_execnz .LBB19_180
.LBB19_178:
	s_waitcnt lgkmcnt(0)
	v_mul_hi_u32 v0, s37, v4
	v_add_u32_e32 v0, v4, v0
	v_lshrrev_b32_e32 v1, s38, v0
	v_mul_lo_u32 v0, v1, s36
	v_sub_u32_e32 v0, v4, v0
	v_mul_lo_u32 v2, v0, s29
	s_andn2_b64 vcc, exec, s[44:45]
	v_mul_lo_u32 v0, v0, s28
	s_cbranch_vccnz .LBB19_180
; %bb.179:
	v_mul_hi_u32 v3, s42, v1
	v_add_u32_e32 v3, v1, v3
	v_lshrrev_b32_e32 v3, s43, v3
	v_mul_lo_u32 v3, v3, s39
	v_sub_u32_e32 v3, v1, v3
	v_mad_u64_u32 v[0:1], s[0:1], v3, s30, v[0:1]
	v_mad_u64_u32 v[2:3], s[0:1], v3, s31, v[2:3]
.LBB19_180:
	s_waitcnt lgkmcnt(0)
	global_load_dword v1, v2, s[26:27]
	s_mov_b32 s0, 0x40a00000
                                        ; implicit-def: $vgpr3
	s_waitcnt vmcnt(0)
	v_cmp_gt_f32_e32 vcc, 0, v1
	v_cndmask_b32_e64 v1, v1, -v1, vcc
	v_cmp_ge_f32_e32 vcc, s0, v1
	v_mul_f32_e32 v2, v1, v1
	s_and_saveexec_b64 s[0:1], vcc
	s_xor_b64 s[0:1], exec, s[0:1]
	s_cbranch_execz .LBB19_186
; %bb.181:
	s_mov_b32 s2, 0x3727c5ac
	v_cmp_ngt_f32_e32 vcc, s2, v1
                                        ; implicit-def: $vgpr3
	s_and_saveexec_b64 s[2:3], vcc
	s_xor_b64 s[2:3], exec, s[2:3]
	s_cbranch_execz .LBB19_183
; %bb.182:
	v_mov_b32_e32 v1, 0x43f9c815
	v_fmac_f32_e32 v1, 0, v2
	v_mov_b32_e32 v3, 0x4829b65a
	v_fmac_f32_e32 v3, v2, v1
	;; [unrolled: 2-line block ×4, first 2 shown]
	s_mov_b32 s6, 0xcf8ee29d
	v_mul_f32_e32 v6, 0, v2
	v_mul_f32_e32 v7, v2, v3
	s_mov_b32 s7, 0x53f5f59c
	v_pk_add_f32 v[6:7], v[6:7], s[6:7]
	s_mov_b32 s6, 0x53e3ba8e
	s_mov_b32 s7, 0x578d3514
	v_pk_fma_f32 v[6:7], v[2:3], v[6:7], s[6:7] op_sel_hi:[0,1,1]
	s_mov_b32 s6, 0xd762b0a7
	s_mov_b32 s7, 0x5ae20a0c
	v_pk_fma_f32 v[6:7], v[2:3], v[6:7], s[6:7] op_sel_hi:[0,1,1]
	;; [unrolled: 3-line block ×3, first 2 shown]
	s_mov_b32 s6, 0xc0b90fdc
	s_mov_b32 s7, 0xc1f3c525
	v_pk_add_f32 v[2:3], v[2:3], s[6:7] op_sel_hi:[0,1]
	v_mul_f32_e32 v1, v2, v3
	v_mul_f32_e32 v1, v1, v6
	v_div_scale_f32 v2, s[6:7], v7, v7, v1
	v_rcp_f32_e32 v3, v2
	v_fma_f32 v5, -v2, v3, 1.0
	v_fmac_f32_e32 v3, v5, v3
	v_div_scale_f32 v5, vcc, v1, v7, v1
	v_mul_f32_e32 v6, v5, v3
	v_fma_f32 v8, -v2, v6, v5
	v_fmac_f32_e32 v6, v8, v3
	v_fma_f32 v2, -v2, v6, v5
	v_div_fmas_f32 v2, v2, v3, v6
	v_div_fixup_f32 v3, v2, v7, v1
                                        ; implicit-def: $vgpr2
.LBB19_183:
	s_andn2_saveexec_b64 s[2:3], s[2:3]
; %bb.184:
	s_mov_b32 s6, 0xbe800000
	v_fma_f32 v3, v2, s6, 1.0
; %bb.185:
	s_or_b64 exec, exec, s[2:3]
                                        ; implicit-def: $vgpr2
                                        ; implicit-def: $vgpr1
.LBB19_186:
	s_andn2_saveexec_b64 s[8:9], s[0:1]
	s_cbranch_execz .LBB19_196
; %bb.187:
	v_add_f32_e32 v3, 0xbf490fdb, v1
	s_brev_b32 s0, 18
	v_and_b32_e32 v5, 0x7fffffff, v3
	v_cmp_nlt_f32_e64 s[10:11], |v3|, s0
                                        ; implicit-def: $vgpr6
                                        ; implicit-def: $vgpr7
	s_and_saveexec_b64 s[0:1], s[10:11]
	s_xor_b64 s[12:13], exec, s[0:1]
	s_cbranch_execz .LBB19_189
; %bb.188:
	v_lshrrev_b32_e32 v6, 23, v5
	v_add_u32_e32 v6, 0xffffff88, v6
	v_not_b32_e32 v8, 63
	v_cmp_lt_u32_e32 vcc, 63, v6
	v_cndmask_b32_e32 v8, 0, v8, vcc
	v_add_u32_e32 v6, v8, v6
	v_not_b32_e32 v8, 31
	v_cmp_lt_u32_e64 s[0:1], 31, v6
	v_cndmask_b32_e64 v9, 0, v8, s[0:1]
	v_add_u32_e32 v6, v9, v6
	v_cmp_lt_u32_e64 s[2:3], 31, v6
	v_cndmask_b32_e64 v8, 0, v8, s[2:3]
	v_add_u32_e32 v20, v8, v6
	v_and_b32_e32 v6, 0x7fffff, v5
	v_or_b32_e32 v21, 0x800000, v6
	s_mov_b32 s6, 0xfe5163ab
	v_mad_u64_u32 v[8:9], s[6:7], v21, s6, 0
	v_mov_b32_e32 v7, 0
	v_mov_b32_e32 v6, v9
	s_mov_b32 s6, 0x3c439041
	v_mad_u64_u32 v[10:11], s[6:7], v21, s6, v[6:7]
	v_mov_b32_e32 v6, v11
	s_mov_b32 s6, 0xdb629599
	v_mad_u64_u32 v[12:13], s[6:7], v21, s6, v[6:7]
	v_mov_b32_e32 v6, v13
	s_mov_b32 s6, 0xf534ddc0
	v_mad_u64_u32 v[14:15], s[6:7], v21, s6, v[6:7]
	v_mov_b32_e32 v6, v15
	s_mov_b32 s6, 0xfc2757d1
	v_mad_u64_u32 v[16:17], s[6:7], v21, s6, v[6:7]
	v_mov_b32_e32 v6, v17
	s_mov_b32 s6, 0x4e441529
	v_mad_u64_u32 v[18:19], s[6:7], v21, s6, v[6:7]
	v_mov_b32_e32 v6, v19
	s_mov_b32 s6, 0xa2f9836e
	v_mad_u64_u32 v[6:7], s[6:7], v21, s6, v[6:7]
	v_cndmask_b32_e32 v9, v18, v14, vcc
	v_cndmask_b32_e32 v6, v6, v16, vcc
	;; [unrolled: 1-line block ×3, first 2 shown]
	v_cndmask_b32_e64 v11, v6, v9, s[0:1]
	v_cndmask_b32_e64 v6, v7, v6, s[0:1]
	v_cndmask_b32_e32 v7, v16, v12, vcc
	v_cndmask_b32_e64 v9, v9, v7, s[0:1]
	v_cndmask_b32_e32 v10, v14, v10, vcc
	v_cndmask_b32_e64 v6, v6, v11, s[2:3]
	v_cndmask_b32_e64 v11, v11, v9, s[2:3]
	v_sub_u32_e32 v13, 32, v20
	v_cndmask_b32_e64 v7, v7, v10, s[0:1]
	v_alignbit_b32 v15, v6, v11, v13
	v_cmp_eq_u32_e64 s[6:7], 0, v20
	v_cndmask_b32_e64 v9, v9, v7, s[2:3]
	v_cndmask_b32_e64 v6, v15, v6, s[6:7]
	v_alignbit_b32 v14, v11, v9, v13
	v_cndmask_b32_e64 v11, v14, v11, s[6:7]
	v_bfe_u32 v16, v6, 29, 1
	v_cndmask_b32_e32 v8, v12, v8, vcc
	v_alignbit_b32 v14, v6, v11, 30
	v_sub_u32_e32 v17, 0, v16
	v_cndmask_b32_e64 v8, v10, v8, s[0:1]
	v_xor_b32_e32 v18, v14, v17
	v_cndmask_b32_e64 v7, v7, v8, s[2:3]
	v_alignbit_b32 v8, v9, v7, v13
	v_ffbh_u32_e32 v10, v18
	v_cndmask_b32_e64 v8, v8, v9, s[6:7]
	v_add_u32_e32 v10, 1, v10
	v_cmp_ne_u32_e32 vcc, v14, v17
	v_alignbit_b32 v9, v11, v8, 30
	v_cndmask_b32_e32 v10, 33, v10, vcc
	v_alignbit_b32 v7, v8, v7, 30
	v_xor_b32_e32 v9, v9, v17
	v_sub_u32_e32 v11, 32, v10
	v_xor_b32_e32 v7, v7, v17
	v_alignbit_b32 v12, v18, v9, v11
	v_alignbit_b32 v7, v9, v7, v11
	;; [unrolled: 1-line block ×3, first 2 shown]
	v_ffbh_u32_e32 v9, v8
	v_min_u32_e32 v9, 32, v9
	v_lshrrev_b32_e32 v15, 29, v6
	v_sub_u32_e32 v11, 31, v9
	v_alignbit_b32 v7, v8, v7, v11
	v_lshlrev_b32_e32 v8, 31, v15
	v_or_b32_e32 v11, 0x33800000, v8
	v_add_lshl_u32 v9, v9, v10, 23
	v_lshrrev_b32_e32 v7, 9, v7
	v_sub_u32_e32 v9, v11, v9
	v_or_b32_e32 v7, v9, v7
	v_alignbit_b32 v9, v10, v12, 9
	v_or_b32_e32 v8, v9, v8
	v_xor_b32_e32 v8, 1.0, v8
	s_mov_b32 s0, 0x3fc90fda
	v_mul_f32_e32 v9, 0x3fc90fda, v8
	v_fma_f32 v10, v8, s0, -v9
	v_fmac_f32_e32 v10, 0x33a22168, v8
	v_fmac_f32_e32 v10, 0x3fc90fda, v7
	v_lshrrev_b32_e32 v6, 30, v6
	v_add_f32_e32 v7, v9, v10
	v_add_u32_e32 v6, v16, v6
	s_andn2_saveexec_b64 s[0:1], s[12:13]
	s_branch .LBB19_190
.LBB19_189:
	s_andn2_saveexec_b64 s[0:1], s[12:13]
.LBB19_190:
	s_mov_b32 s2, 0x3f22f983
	v_mul_f32_e64 v6, |v3|, s2
	v_rndne_f32_e32 v8, v6
	s_mov_b32 s2, 0xbfc90fda
	v_cvt_i32_f32_e32 v6, v8
	v_fma_f32 v7, v8, s2, |v3|
	v_fmac_f32_e32 v7, 0xb3a22168, v8
	v_fmac_f32_e32 v7, 0xa7c234c4, v8
; %bb.191:
	s_or_b64 exec, exec, s[0:1]
                                        ; implicit-def: $vgpr8
                                        ; implicit-def: $vgpr9
	s_and_saveexec_b64 s[0:1], s[10:11]
	s_xor_b64 s[10:11], exec, s[0:1]
	s_cbranch_execz .LBB19_193
; %bb.192:
	v_lshrrev_b32_e32 v8, 23, v5
	v_add_u32_e32 v8, 0xffffff88, v8
	v_not_b32_e32 v10, 63
	v_cmp_lt_u32_e32 vcc, 63, v8
	v_cndmask_b32_e32 v10, 0, v10, vcc
	v_add_u32_e32 v8, v10, v8
	v_not_b32_e32 v10, 31
	v_cmp_lt_u32_e64 s[0:1], 31, v8
	v_cndmask_b32_e64 v11, 0, v10, s[0:1]
	v_add_u32_e32 v8, v11, v8
	v_cmp_lt_u32_e64 s[2:3], 31, v8
	v_cndmask_b32_e64 v10, 0, v10, s[2:3]
	v_add_u32_e32 v22, v10, v8
	v_and_b32_e32 v8, 0x7fffff, v5
	v_or_b32_e32 v23, 0x800000, v8
	s_mov_b32 s6, 0xfe5163ab
	v_mad_u64_u32 v[10:11], s[6:7], v23, s6, 0
	v_mov_b32_e32 v9, 0
	v_mov_b32_e32 v8, v11
	s_mov_b32 s6, 0x3c439041
	v_mad_u64_u32 v[12:13], s[6:7], v23, s6, v[8:9]
	v_mov_b32_e32 v8, v13
	s_mov_b32 s6, 0xdb629599
	v_mad_u64_u32 v[14:15], s[6:7], v23, s6, v[8:9]
	;; [unrolled: 3-line block ×6, first 2 shown]
	v_cndmask_b32_e32 v11, v20, v16, vcc
	v_cndmask_b32_e32 v8, v8, v18, vcc
	v_cndmask_b32_e32 v9, v9, v20, vcc
	v_cndmask_b32_e64 v13, v8, v11, s[0:1]
	v_cndmask_b32_e64 v8, v9, v8, s[0:1]
	v_cndmask_b32_e32 v9, v18, v14, vcc
	v_cndmask_b32_e64 v11, v11, v9, s[0:1]
	v_cndmask_b32_e32 v12, v16, v12, vcc
	v_cndmask_b32_e64 v8, v8, v13, s[2:3]
	v_cndmask_b32_e64 v13, v13, v11, s[2:3]
	v_sub_u32_e32 v15, 32, v22
	v_cndmask_b32_e64 v9, v9, v12, s[0:1]
	v_alignbit_b32 v17, v8, v13, v15
	v_cmp_eq_u32_e64 s[6:7], 0, v22
	v_cndmask_b32_e64 v11, v11, v9, s[2:3]
	v_cndmask_b32_e64 v8, v17, v8, s[6:7]
	v_alignbit_b32 v16, v13, v11, v15
	v_cndmask_b32_e64 v13, v16, v13, s[6:7]
	v_bfe_u32 v18, v8, 29, 1
	v_cndmask_b32_e32 v10, v14, v10, vcc
	v_alignbit_b32 v16, v8, v13, 30
	v_sub_u32_e32 v19, 0, v18
	v_cndmask_b32_e64 v10, v12, v10, s[0:1]
	v_xor_b32_e32 v20, v16, v19
	v_cndmask_b32_e64 v9, v9, v10, s[2:3]
	v_alignbit_b32 v10, v11, v9, v15
	v_ffbh_u32_e32 v12, v20
	v_cndmask_b32_e64 v10, v10, v11, s[6:7]
	v_add_u32_e32 v12, 1, v12
	v_cmp_ne_u32_e32 vcc, v16, v19
	v_alignbit_b32 v11, v13, v10, 30
	v_cndmask_b32_e32 v12, 33, v12, vcc
	v_alignbit_b32 v9, v10, v9, 30
	v_xor_b32_e32 v11, v11, v19
	v_sub_u32_e32 v13, 32, v12
	v_xor_b32_e32 v9, v9, v19
	v_alignbit_b32 v14, v20, v11, v13
	v_alignbit_b32 v9, v11, v9, v13
	;; [unrolled: 1-line block ×3, first 2 shown]
	v_ffbh_u32_e32 v11, v10
	v_min_u32_e32 v11, 32, v11
	v_lshrrev_b32_e32 v17, 29, v8
	v_sub_u32_e32 v13, 31, v11
	v_alignbit_b32 v9, v10, v9, v13
	v_lshlrev_b32_e32 v10, 31, v17
	v_or_b32_e32 v13, 0x33800000, v10
	v_add_lshl_u32 v11, v11, v12, 23
	v_lshrrev_b32_e32 v9, 9, v9
	v_sub_u32_e32 v11, v13, v11
	v_or_b32_e32 v9, v11, v9
	v_alignbit_b32 v11, v12, v14, 9
	v_or_b32_e32 v10, v11, v10
	v_xor_b32_e32 v10, 1.0, v10
	s_mov_b32 s0, 0x3fc90fda
	v_mul_f32_e32 v11, 0x3fc90fda, v10
	v_fma_f32 v12, v10, s0, -v11
	v_fmac_f32_e32 v12, 0x33a22168, v10
	v_fmac_f32_e32 v12, 0x3fc90fda, v9
	v_lshrrev_b32_e32 v8, 30, v8
	v_add_f32_e32 v9, v11, v12
	v_add_u32_e32 v8, v18, v8
	s_andn2_saveexec_b64 s[0:1], s[10:11]
	s_cbranch_execnz .LBB19_194
	s_branch .LBB19_195
.LBB19_193:
	s_andn2_saveexec_b64 s[0:1], s[10:11]
.LBB19_194:
	s_mov_b32 s2, 0x3f22f983
	v_mul_f32_e64 v8, |v3|, s2
	v_rndne_f32_e32 v10, v8
	s_mov_b32 s2, 0xbfc90fda
	v_cvt_i32_f32_e32 v8, v10
	v_fma_f32 v9, v10, s2, |v3|
	v_fmac_f32_e32 v9, 0xb3a22168, v10
	v_fmac_f32_e32 v9, 0xa7c234c4, v10
.LBB19_195:
	s_or_b64 exec, exec, s[0:1]
	s_mov_b32 s2, 0x41c80000
	v_div_scale_f32 v10, s[0:1], v2, v2, s2
	v_rcp_f32_e32 v11, v10
	v_div_scale_f32 v12, vcc, s2, v2, s2
	v_mov_b32_e32 v18, 0xbf000004
	v_fma_f32 v13, -v10, v11, 1.0
	v_fmac_f32_e32 v11, v13, v11
	v_mul_f32_e32 v13, v12, v11
	v_fma_f32 v14, -v10, v13, v12
	v_fmac_f32_e32 v13, v14, v11
	v_fma_f32 v10, -v10, v13, v12
	v_div_fmas_f32 v10, v10, v11, v13
	v_div_fixup_f32 v2, v10, v2, s2
	v_mov_b32_e32 v10, 0x3a50e985
	v_fmac_f32_e32 v10, 0, v2
	v_mov_b32_e32 v11, 0x3da9a586
	v_fmac_f32_e32 v11, v2, v10
	;; [unrolled: 2-line block ×12, first 2 shown]
	v_fma_f32 v10, v2, v12, 1.0
	v_mov_b32_e32 v12, 0xbc3a3a12
	v_fmac_f32_e32 v12, 0, v2
	v_mov_b32_e32 v13, 0xbfa429da
	v_fmac_f32_e32 v13, v2, v12
	;; [unrolled: 2-line block ×9, first 2 shown]
	v_mov_b32_e32 v14, 0x44561b86
	v_fma_f32 v11, v2, v11, 1.0
	v_fmac_f32_e32 v14, v2, v12
	v_mov_b32_e32 v12, 0x4572a66e
	v_div_scale_f32 v15, s[0:1], v10, v10, v11
	v_fmac_f32_e32 v12, v2, v14
	v_mov_b32_e32 v14, 0x45e243be
	v_rcp_f32_e32 v16, v15
	v_fmac_f32_e32 v14, v2, v12
	v_mov_b32_e32 v12, 0x45b955d1
	v_fmac_f32_e32 v12, v2, v14
	v_mov_b32_e32 v14, 0x4500e17e
	;; [unrolled: 2-line block ×3, first 2 shown]
	v_fmac_f32_e32 v12, v2, v14
	v_fma_f32 v2, -v15, v16, 1.0
	v_fmac_f32_e32 v16, v2, v16
	v_div_scale_f32 v2, vcc, v11, v10, v11
	v_mul_f32_e32 v14, v2, v16
	v_fma_f32 v17, -v15, v14, v2
	v_fmac_f32_e32 v14, v17, v16
	v_fma_f32 v2, -v15, v14, v2
	v_div_fmas_f32 v2, v2, v16, v14
	v_div_fixup_f32 v2, v2, v10, v11
	v_mul_f32_e32 v10, v7, v7
	v_mov_b32_e32 v16, 0xbab64f3b
	v_mov_b32_e32 v14, 0x3c0881c4
	v_fmac_f32_e32 v16, 0x37d75334, v10
	v_mov_b32_e32 v17, 0x3d2aabf7
	v_fmac_f32_e32 v14, 0xb94c1982, v10
	v_mov_b32_e32 v15, 0xbe2aaa9d
	v_fma_f32 v16, v10, v16, v17
	v_fma_f32 v14, v10, v14, v15
	;; [unrolled: 1-line block ×3, first 2 shown]
	v_mul_f32_e32 v14, v10, v14
	v_fma_f32 v10, v10, v16, 1.0
	v_and_b32_e32 v16, 1, v6
	v_fmac_f32_e32 v7, v7, v14
	v_cmp_eq_u32_e32 vcc, 0, v16
	v_lshlrev_b32_e32 v6, 30, v6
	v_cndmask_b32_e64 v7, -v7, v10, vcc
	v_and_b32_e32 v6, 0x80000000, v6
	s_mov_b32 s6, 0xc0a00000
	v_xor_b32_e32 v6, v6, v7
	v_div_scale_f32 v7, s[0:1], v1, v1, s6
	v_rcp_f32_e32 v10, v7
	s_movk_i32 s2, 0x1f8
	v_cmp_class_f32_e64 s[0:1], v3, s2
	v_mov_b32_e32 v11, 0x3c0881c4
	v_fma_f32 v19, -v7, v10, 1.0
	v_fmac_f32_e32 v10, v19, v10
	v_div_scale_f32 v19, vcc, s6, v1, s6
	v_mul_f32_e32 v20, v19, v10
	v_fma_f32 v21, -v7, v20, v19
	v_fmac_f32_e32 v20, v21, v10
	v_fma_f32 v7, -v7, v20, v19
	v_div_scale_f32 v19, s[2:3], v12, v12, v13
	v_rcp_f32_e32 v21, v19
	v_div_fmas_f32 v7, v7, v10, v20
	v_div_fixup_f32 v7, v7, v1, s6
	v_mov_b32_e32 v14, 0xbab64f3b
	v_fma_f32 v10, -v19, v21, 1.0
	v_fmac_f32_e32 v21, v10, v21
	v_div_scale_f32 v10, vcc, v13, v12, v13
	v_mul_f32_e32 v20, v10, v21
	v_fma_f32 v22, -v19, v20, v10
	v_fmac_f32_e32 v20, v22, v21
	v_fma_f32 v10, -v19, v20, v10
	v_div_fmas_f32 v10, v10, v21, v20
	v_div_fixup_f32 v10, v10, v12, v13
	v_mul_f32_e32 v7, v7, v10
	v_mul_f32_e32 v10, v9, v9
	v_fmac_f32_e32 v11, 0xb94c1982, v10
	v_fmac_f32_e32 v15, v10, v11
	;; [unrolled: 1-line block ×3, first 2 shown]
	v_mul_f32_e32 v11, v10, v15
	v_fmac_f32_e32 v17, v10, v14
	v_fmac_f32_e32 v9, v9, v11
	;; [unrolled: 1-line block ×3, first 2 shown]
	v_and_b32_e32 v11, 1, v8
	v_lshlrev_b32_e32 v8, 30, v8
	v_fma_f32 v10, v10, v18, 1.0
	v_cmp_eq_u32_e32 vcc, 0, v11
	v_and_b32_e32 v8, 0x80000000, v8
	v_xor_b32_e32 v3, v5, v3
	v_cndmask_b32_e32 v9, v10, v9, vcc
	v_xor_b32_e32 v3, v3, v8
	v_mov_b32_e32 v16, 0x7fc00000
	v_xor_b32_e32 v3, v3, v9
	v_cndmask_b32_e64 v6, v16, v6, s[0:1]
	v_cndmask_b32_e64 v3, v16, v3, s[0:1]
	s_mov_b32 s0, 0xf800000
	v_mul_f32_e32 v5, 0x4f800000, v1
	v_cmp_gt_f32_e32 vcc, s0, v1
	v_cndmask_b32_e32 v1, v1, v5, vcc
	v_sqrt_f32_e32 v5, v1
	v_mul_f32_e32 v3, v7, v3
	v_fmac_f32_e32 v3, v2, v6
	v_mul_f32_e32 v2, 0x3f4c422a, v3
	v_add_u32_e32 v3, -1, v5
	v_fma_f32 v6, -v3, v5, v1
	v_cmp_ge_f32_e64 s[0:1], 0, v6
	v_add_u32_e32 v6, 1, v5
	v_cndmask_b32_e64 v3, v5, v3, s[0:1]
	v_fma_f32 v5, -v6, v5, v1
	v_cmp_lt_f32_e64 s[0:1], 0, v5
	v_cndmask_b32_e64 v3, v3, v6, s[0:1]
	v_mul_f32_e32 v5, 0x37800000, v3
	v_cndmask_b32_e32 v3, v3, v5, vcc
	v_mov_b32_e32 v5, 0x260
	v_cmp_class_f32_e32 vcc, v1, v5
	v_cndmask_b32_e32 v1, v3, v1, vcc
	v_div_scale_f32 v3, s[0:1], v1, v1, v2
	v_rcp_f32_e32 v5, v3
	v_fma_f32 v6, -v3, v5, 1.0
	v_fmac_f32_e32 v5, v6, v5
	v_div_scale_f32 v6, vcc, v2, v1, v2
	v_mul_f32_e32 v7, v6, v5
	v_fma_f32 v8, -v3, v7, v6
	v_fmac_f32_e32 v7, v8, v5
	v_fma_f32 v3, -v3, v7, v6
	v_div_fmas_f32 v3, v3, v5, v7
	v_div_fixup_f32 v3, v3, v1, v2
.LBB19_196:
	s_or_b64 exec, exec, s[8:9]
	v_add_u32_e32 v4, 0x80, v4
	global_store_dword v0, v3, s[24:25]
	s_or_b64 exec, exec, s[50:51]
	v_cmp_gt_i32_e32 vcc, s57, v4
	s_and_saveexec_b64 s[50:51], vcc
	s_cbranch_execnz .LBB19_165
.LBB19_197:
	s_or_b64 exec, exec, s[50:51]
	v_cmp_gt_i32_e32 vcc, s57, v4
	s_and_saveexec_b64 s[50:51], vcc
	s_cbranch_execnz .LBB19_225
.LBB19_198:
	s_or_b64 exec, exec, s[50:51]
                                        ; implicit-def: $vgpr9
                                        ; implicit-def: $vgpr4
	s_andn2_saveexec_b64 s[0:1], s[40:41]
	s_cbranch_execnz .LBB19_9
.LBB19_199:
	s_endpgm
.LBB19_200:
	s_mov_b32 s7, s6
	v_pk_mov_b32 v[0:1], s[6:7], s[6:7] op_sel:[0,1]
                                        ; implicit-def: $vgpr2
	v_mov_b32_e32 v3, v4
.LBB19_201:
	s_and_b32 s7, s59, 3
	s_cmp_eq_u32 s7, 0
	s_cbranch_scc1 .LBB19_205
; %bb.202:
	s_lshl_b32 s0, s6, 3
	s_add_u32 s0, s0, s4
	s_addc_u32 s1, s5, 0
	s_add_u32 s0, s0, 0xc4
	s_addc_u32 s1, s1, 0
	s_mul_i32 s2, s6, 12
	s_add_u32 s2, s4, s2
	s_addc_u32 s3, s5, 0
.LBB19_203:                             ; =>This Inner Loop Header: Depth=1
	s_load_dwordx2 s[8:9], s[2:3], 0x4
	s_load_dword s6, s[2:3], 0xc
	s_load_dwordx2 s[10:11], s[0:1], 0x0
	v_mov_b32_e32 v2, v1
	s_add_u32 s2, s2, 12
	s_waitcnt lgkmcnt(0)
	v_mul_hi_u32 v1, s9, v3
	v_add_u32_e32 v1, v3, v1
	v_lshrrev_b32_e32 v1, s6, v1
	s_addc_u32 s3, s3, 0
	v_mul_lo_u32 v5, v1, s8
	s_add_u32 s0, s0, 8
	v_sub_u32_e32 v5, v3, v5
	v_mov_b32_e32 v3, v1
	s_addc_u32 s1, s1, 0
	s_add_i32 s7, s7, -1
	v_mad_u64_u32 v[6:7], s[8:9], v5, s11, v[2:3]
	v_mad_u64_u32 v[0:1], s[8:9], v5, s10, v[0:1]
	s_cmp_lg_u32 s7, 0
	v_mov_b32_e32 v1, v6
	s_cbranch_scc1 .LBB19_203
; %bb.204:
	v_mov_b32_e32 v2, v1
.LBB19_205:
	s_cbranch_execnz .LBB19_208
.LBB19_206:
	s_waitcnt lgkmcnt(0)
	v_mul_hi_u32 v0, s37, v4
	v_add_u32_e32 v0, v4, v0
	v_lshrrev_b32_e32 v1, s38, v0
	v_mul_lo_u32 v0, v1, s36
	v_sub_u32_e32 v0, v4, v0
	v_mul_lo_u32 v2, v0, s29
	s_andn2_b64 vcc, exec, s[44:45]
	v_mul_lo_u32 v0, v0, s28
	s_cbranch_vccnz .LBB19_208
; %bb.207:
	v_mul_hi_u32 v3, s42, v1
	v_add_u32_e32 v3, v1, v3
	v_lshrrev_b32_e32 v3, s43, v3
	v_mul_lo_u32 v3, v3, s39
	v_sub_u32_e32 v3, v1, v3
	v_mad_u64_u32 v[0:1], s[0:1], v3, s30, v[0:1]
	v_mad_u64_u32 v[2:3], s[0:1], v3, s31, v[2:3]
.LBB19_208:
	s_waitcnt lgkmcnt(0)
	global_load_dword v1, v2, s[26:27]
	s_mov_b32 s0, 0x40a00000
                                        ; implicit-def: $vgpr3
	s_waitcnt vmcnt(0)
	v_cmp_gt_f32_e32 vcc, 0, v1
	v_cndmask_b32_e64 v1, v1, -v1, vcc
	v_cmp_ge_f32_e32 vcc, s0, v1
	v_mul_f32_e32 v2, v1, v1
	s_and_saveexec_b64 s[0:1], vcc
	s_xor_b64 s[0:1], exec, s[0:1]
	s_cbranch_execz .LBB19_214
; %bb.209:
	s_mov_b32 s2, 0x3727c5ac
	v_cmp_ngt_f32_e32 vcc, s2, v1
                                        ; implicit-def: $vgpr3
	s_and_saveexec_b64 s[2:3], vcc
	s_xor_b64 s[2:3], exec, s[2:3]
	s_cbranch_execz .LBB19_211
; %bb.210:
	v_mov_b32_e32 v1, 0x43f9c815
	v_fmac_f32_e32 v1, 0, v2
	v_mov_b32_e32 v3, 0x4829b65a
	v_fmac_f32_e32 v3, v2, v1
	;; [unrolled: 2-line block ×4, first 2 shown]
	s_mov_b32 s6, 0xcf8ee29d
	v_mul_f32_e32 v6, 0, v2
	v_mul_f32_e32 v7, v2, v3
	s_mov_b32 s7, 0x53f5f59c
	v_pk_add_f32 v[6:7], v[6:7], s[6:7]
	s_mov_b32 s6, 0x53e3ba8e
	s_mov_b32 s7, 0x578d3514
	v_pk_fma_f32 v[6:7], v[2:3], v[6:7], s[6:7] op_sel_hi:[0,1,1]
	s_mov_b32 s6, 0xd762b0a7
	s_mov_b32 s7, 0x5ae20a0c
	v_pk_fma_f32 v[6:7], v[2:3], v[6:7], s[6:7] op_sel_hi:[0,1,1]
	;; [unrolled: 3-line block ×3, first 2 shown]
	s_mov_b32 s6, 0xc0b90fdc
	s_mov_b32 s7, 0xc1f3c525
	v_pk_add_f32 v[2:3], v[2:3], s[6:7] op_sel_hi:[0,1]
	v_mul_f32_e32 v1, v2, v3
	v_mul_f32_e32 v1, v1, v6
	v_div_scale_f32 v2, s[6:7], v7, v7, v1
	v_rcp_f32_e32 v3, v2
	v_fma_f32 v5, -v2, v3, 1.0
	v_fmac_f32_e32 v3, v5, v3
	v_div_scale_f32 v5, vcc, v1, v7, v1
	v_mul_f32_e32 v6, v5, v3
	v_fma_f32 v8, -v2, v6, v5
	v_fmac_f32_e32 v6, v8, v3
	v_fma_f32 v2, -v2, v6, v5
	v_div_fmas_f32 v2, v2, v3, v6
	v_div_fixup_f32 v3, v2, v7, v1
                                        ; implicit-def: $vgpr2
.LBB19_211:
	s_andn2_saveexec_b64 s[2:3], s[2:3]
; %bb.212:
	s_mov_b32 s6, 0xbe800000
	v_fma_f32 v3, v2, s6, 1.0
; %bb.213:
	s_or_b64 exec, exec, s[2:3]
                                        ; implicit-def: $vgpr2
                                        ; implicit-def: $vgpr1
.LBB19_214:
	s_andn2_saveexec_b64 s[8:9], s[0:1]
	s_cbranch_execz .LBB19_224
; %bb.215:
	v_add_f32_e32 v3, 0xbf490fdb, v1
	s_brev_b32 s0, 18
	v_and_b32_e32 v5, 0x7fffffff, v3
	v_cmp_nlt_f32_e64 s[10:11], |v3|, s0
                                        ; implicit-def: $vgpr6
                                        ; implicit-def: $vgpr7
	s_and_saveexec_b64 s[0:1], s[10:11]
	s_xor_b64 s[12:13], exec, s[0:1]
	s_cbranch_execz .LBB19_217
; %bb.216:
	v_lshrrev_b32_e32 v6, 23, v5
	v_add_u32_e32 v6, 0xffffff88, v6
	v_not_b32_e32 v8, 63
	v_cmp_lt_u32_e32 vcc, 63, v6
	v_cndmask_b32_e32 v8, 0, v8, vcc
	v_add_u32_e32 v6, v8, v6
	v_not_b32_e32 v8, 31
	v_cmp_lt_u32_e64 s[0:1], 31, v6
	v_cndmask_b32_e64 v9, 0, v8, s[0:1]
	v_add_u32_e32 v6, v9, v6
	v_cmp_lt_u32_e64 s[2:3], 31, v6
	v_cndmask_b32_e64 v8, 0, v8, s[2:3]
	v_add_u32_e32 v20, v8, v6
	v_and_b32_e32 v6, 0x7fffff, v5
	v_or_b32_e32 v21, 0x800000, v6
	s_mov_b32 s6, 0xfe5163ab
	v_mad_u64_u32 v[8:9], s[6:7], v21, s6, 0
	v_mov_b32_e32 v7, 0
	v_mov_b32_e32 v6, v9
	s_mov_b32 s6, 0x3c439041
	v_mad_u64_u32 v[10:11], s[6:7], v21, s6, v[6:7]
	v_mov_b32_e32 v6, v11
	s_mov_b32 s6, 0xdb629599
	v_mad_u64_u32 v[12:13], s[6:7], v21, s6, v[6:7]
	;; [unrolled: 3-line block ×6, first 2 shown]
	v_cndmask_b32_e32 v9, v18, v14, vcc
	v_cndmask_b32_e32 v6, v6, v16, vcc
	;; [unrolled: 1-line block ×3, first 2 shown]
	v_cndmask_b32_e64 v11, v6, v9, s[0:1]
	v_cndmask_b32_e64 v6, v7, v6, s[0:1]
	v_cndmask_b32_e32 v7, v16, v12, vcc
	v_cndmask_b32_e64 v9, v9, v7, s[0:1]
	v_cndmask_b32_e32 v10, v14, v10, vcc
	v_cndmask_b32_e64 v6, v6, v11, s[2:3]
	v_cndmask_b32_e64 v11, v11, v9, s[2:3]
	v_sub_u32_e32 v13, 32, v20
	v_cndmask_b32_e64 v7, v7, v10, s[0:1]
	v_alignbit_b32 v15, v6, v11, v13
	v_cmp_eq_u32_e64 s[6:7], 0, v20
	v_cndmask_b32_e64 v9, v9, v7, s[2:3]
	v_cndmask_b32_e64 v6, v15, v6, s[6:7]
	v_alignbit_b32 v14, v11, v9, v13
	v_cndmask_b32_e64 v11, v14, v11, s[6:7]
	v_bfe_u32 v16, v6, 29, 1
	v_cndmask_b32_e32 v8, v12, v8, vcc
	v_alignbit_b32 v14, v6, v11, 30
	v_sub_u32_e32 v17, 0, v16
	v_cndmask_b32_e64 v8, v10, v8, s[0:1]
	v_xor_b32_e32 v18, v14, v17
	v_cndmask_b32_e64 v7, v7, v8, s[2:3]
	v_alignbit_b32 v8, v9, v7, v13
	v_ffbh_u32_e32 v10, v18
	v_cndmask_b32_e64 v8, v8, v9, s[6:7]
	v_add_u32_e32 v10, 1, v10
	v_cmp_ne_u32_e32 vcc, v14, v17
	v_alignbit_b32 v9, v11, v8, 30
	v_cndmask_b32_e32 v10, 33, v10, vcc
	v_alignbit_b32 v7, v8, v7, 30
	v_xor_b32_e32 v9, v9, v17
	v_sub_u32_e32 v11, 32, v10
	v_xor_b32_e32 v7, v7, v17
	v_alignbit_b32 v12, v18, v9, v11
	v_alignbit_b32 v7, v9, v7, v11
	;; [unrolled: 1-line block ×3, first 2 shown]
	v_ffbh_u32_e32 v9, v8
	v_min_u32_e32 v9, 32, v9
	v_lshrrev_b32_e32 v15, 29, v6
	v_sub_u32_e32 v11, 31, v9
	v_alignbit_b32 v7, v8, v7, v11
	v_lshlrev_b32_e32 v8, 31, v15
	v_or_b32_e32 v11, 0x33800000, v8
	v_add_lshl_u32 v9, v9, v10, 23
	v_lshrrev_b32_e32 v7, 9, v7
	v_sub_u32_e32 v9, v11, v9
	v_or_b32_e32 v7, v9, v7
	v_alignbit_b32 v9, v10, v12, 9
	v_or_b32_e32 v8, v9, v8
	v_xor_b32_e32 v8, 1.0, v8
	s_mov_b32 s0, 0x3fc90fda
	v_mul_f32_e32 v9, 0x3fc90fda, v8
	v_fma_f32 v10, v8, s0, -v9
	v_fmac_f32_e32 v10, 0x33a22168, v8
	v_fmac_f32_e32 v10, 0x3fc90fda, v7
	v_lshrrev_b32_e32 v6, 30, v6
	v_add_f32_e32 v7, v9, v10
	v_add_u32_e32 v6, v16, v6
	s_andn2_saveexec_b64 s[0:1], s[12:13]
	s_branch .LBB19_218
.LBB19_217:
	s_andn2_saveexec_b64 s[0:1], s[12:13]
.LBB19_218:
	s_mov_b32 s2, 0x3f22f983
	v_mul_f32_e64 v6, |v3|, s2
	v_rndne_f32_e32 v8, v6
	s_mov_b32 s2, 0xbfc90fda
	v_cvt_i32_f32_e32 v6, v8
	v_fma_f32 v7, v8, s2, |v3|
	v_fmac_f32_e32 v7, 0xb3a22168, v8
	v_fmac_f32_e32 v7, 0xa7c234c4, v8
; %bb.219:
	s_or_b64 exec, exec, s[0:1]
                                        ; implicit-def: $vgpr8
                                        ; implicit-def: $vgpr9
	s_and_saveexec_b64 s[0:1], s[10:11]
	s_xor_b64 s[10:11], exec, s[0:1]
	s_cbranch_execz .LBB19_221
; %bb.220:
	v_lshrrev_b32_e32 v8, 23, v5
	v_add_u32_e32 v8, 0xffffff88, v8
	v_not_b32_e32 v10, 63
	v_cmp_lt_u32_e32 vcc, 63, v8
	v_cndmask_b32_e32 v10, 0, v10, vcc
	v_add_u32_e32 v8, v10, v8
	v_not_b32_e32 v10, 31
	v_cmp_lt_u32_e64 s[0:1], 31, v8
	v_cndmask_b32_e64 v11, 0, v10, s[0:1]
	v_add_u32_e32 v8, v11, v8
	v_cmp_lt_u32_e64 s[2:3], 31, v8
	v_cndmask_b32_e64 v10, 0, v10, s[2:3]
	v_add_u32_e32 v22, v10, v8
	v_and_b32_e32 v8, 0x7fffff, v5
	v_or_b32_e32 v23, 0x800000, v8
	s_mov_b32 s6, 0xfe5163ab
	v_mad_u64_u32 v[10:11], s[6:7], v23, s6, 0
	v_mov_b32_e32 v9, 0
	v_mov_b32_e32 v8, v11
	s_mov_b32 s6, 0x3c439041
	v_mad_u64_u32 v[12:13], s[6:7], v23, s6, v[8:9]
	v_mov_b32_e32 v8, v13
	s_mov_b32 s6, 0xdb629599
	v_mad_u64_u32 v[14:15], s[6:7], v23, s6, v[8:9]
	;; [unrolled: 3-line block ×6, first 2 shown]
	v_cndmask_b32_e32 v11, v20, v16, vcc
	v_cndmask_b32_e32 v8, v8, v18, vcc
	;; [unrolled: 1-line block ×3, first 2 shown]
	v_cndmask_b32_e64 v13, v8, v11, s[0:1]
	v_cndmask_b32_e64 v8, v9, v8, s[0:1]
	v_cndmask_b32_e32 v9, v18, v14, vcc
	v_cndmask_b32_e64 v11, v11, v9, s[0:1]
	v_cndmask_b32_e32 v12, v16, v12, vcc
	v_cndmask_b32_e64 v8, v8, v13, s[2:3]
	v_cndmask_b32_e64 v13, v13, v11, s[2:3]
	v_sub_u32_e32 v15, 32, v22
	v_cndmask_b32_e64 v9, v9, v12, s[0:1]
	v_alignbit_b32 v17, v8, v13, v15
	v_cmp_eq_u32_e64 s[6:7], 0, v22
	v_cndmask_b32_e64 v11, v11, v9, s[2:3]
	v_cndmask_b32_e64 v8, v17, v8, s[6:7]
	v_alignbit_b32 v16, v13, v11, v15
	v_cndmask_b32_e64 v13, v16, v13, s[6:7]
	v_bfe_u32 v18, v8, 29, 1
	v_cndmask_b32_e32 v10, v14, v10, vcc
	v_alignbit_b32 v16, v8, v13, 30
	v_sub_u32_e32 v19, 0, v18
	v_cndmask_b32_e64 v10, v12, v10, s[0:1]
	v_xor_b32_e32 v20, v16, v19
	v_cndmask_b32_e64 v9, v9, v10, s[2:3]
	v_alignbit_b32 v10, v11, v9, v15
	v_ffbh_u32_e32 v12, v20
	v_cndmask_b32_e64 v10, v10, v11, s[6:7]
	v_add_u32_e32 v12, 1, v12
	v_cmp_ne_u32_e32 vcc, v16, v19
	v_alignbit_b32 v11, v13, v10, 30
	v_cndmask_b32_e32 v12, 33, v12, vcc
	v_alignbit_b32 v9, v10, v9, 30
	v_xor_b32_e32 v11, v11, v19
	v_sub_u32_e32 v13, 32, v12
	v_xor_b32_e32 v9, v9, v19
	v_alignbit_b32 v14, v20, v11, v13
	v_alignbit_b32 v9, v11, v9, v13
	;; [unrolled: 1-line block ×3, first 2 shown]
	v_ffbh_u32_e32 v11, v10
	v_min_u32_e32 v11, 32, v11
	v_lshrrev_b32_e32 v17, 29, v8
	v_sub_u32_e32 v13, 31, v11
	v_alignbit_b32 v9, v10, v9, v13
	v_lshlrev_b32_e32 v10, 31, v17
	v_or_b32_e32 v13, 0x33800000, v10
	v_add_lshl_u32 v11, v11, v12, 23
	v_lshrrev_b32_e32 v9, 9, v9
	v_sub_u32_e32 v11, v13, v11
	v_or_b32_e32 v9, v11, v9
	v_alignbit_b32 v11, v12, v14, 9
	v_or_b32_e32 v10, v11, v10
	v_xor_b32_e32 v10, 1.0, v10
	s_mov_b32 s0, 0x3fc90fda
	v_mul_f32_e32 v11, 0x3fc90fda, v10
	v_fma_f32 v12, v10, s0, -v11
	v_fmac_f32_e32 v12, 0x33a22168, v10
	v_fmac_f32_e32 v12, 0x3fc90fda, v9
	v_lshrrev_b32_e32 v8, 30, v8
	v_add_f32_e32 v9, v11, v12
	v_add_u32_e32 v8, v18, v8
	s_andn2_saveexec_b64 s[0:1], s[10:11]
	s_cbranch_execnz .LBB19_222
	s_branch .LBB19_223
.LBB19_221:
	s_andn2_saveexec_b64 s[0:1], s[10:11]
.LBB19_222:
	s_mov_b32 s2, 0x3f22f983
	v_mul_f32_e64 v8, |v3|, s2
	v_rndne_f32_e32 v10, v8
	s_mov_b32 s2, 0xbfc90fda
	v_cvt_i32_f32_e32 v8, v10
	v_fma_f32 v9, v10, s2, |v3|
	v_fmac_f32_e32 v9, 0xb3a22168, v10
	v_fmac_f32_e32 v9, 0xa7c234c4, v10
.LBB19_223:
	s_or_b64 exec, exec, s[0:1]
	s_mov_b32 s2, 0x41c80000
	v_div_scale_f32 v10, s[0:1], v2, v2, s2
	v_rcp_f32_e32 v11, v10
	v_div_scale_f32 v12, vcc, s2, v2, s2
	v_mov_b32_e32 v18, 0xbf000004
	v_fma_f32 v13, -v10, v11, 1.0
	v_fmac_f32_e32 v11, v13, v11
	v_mul_f32_e32 v13, v12, v11
	v_fma_f32 v14, -v10, v13, v12
	v_fmac_f32_e32 v13, v14, v11
	v_fma_f32 v10, -v10, v13, v12
	v_div_fmas_f32 v10, v10, v11, v13
	v_div_fixup_f32 v2, v10, v2, s2
	v_mov_b32_e32 v10, 0x3a50e985
	v_fmac_f32_e32 v10, 0, v2
	v_mov_b32_e32 v11, 0x3da9a586
	v_fmac_f32_e32 v11, v2, v10
	;; [unrolled: 2-line block ×12, first 2 shown]
	v_fma_f32 v10, v2, v12, 1.0
	v_mov_b32_e32 v12, 0xbc3a3a12
	v_fmac_f32_e32 v12, 0, v2
	v_mov_b32_e32 v13, 0xbfa429da
	v_fmac_f32_e32 v13, v2, v12
	;; [unrolled: 2-line block ×9, first 2 shown]
	v_mov_b32_e32 v14, 0x44561b86
	v_fma_f32 v11, v2, v11, 1.0
	v_fmac_f32_e32 v14, v2, v12
	v_mov_b32_e32 v12, 0x4572a66e
	v_div_scale_f32 v15, s[0:1], v10, v10, v11
	v_fmac_f32_e32 v12, v2, v14
	v_mov_b32_e32 v14, 0x45e243be
	v_rcp_f32_e32 v16, v15
	v_fmac_f32_e32 v14, v2, v12
	v_mov_b32_e32 v12, 0x45b955d1
	v_fmac_f32_e32 v12, v2, v14
	v_mov_b32_e32 v14, 0x4500e17e
	;; [unrolled: 2-line block ×3, first 2 shown]
	v_fmac_f32_e32 v12, v2, v14
	v_fma_f32 v2, -v15, v16, 1.0
	v_fmac_f32_e32 v16, v2, v16
	v_div_scale_f32 v2, vcc, v11, v10, v11
	v_mul_f32_e32 v14, v2, v16
	v_fma_f32 v17, -v15, v14, v2
	v_fmac_f32_e32 v14, v17, v16
	v_fma_f32 v2, -v15, v14, v2
	v_div_fmas_f32 v2, v2, v16, v14
	v_div_fixup_f32 v2, v2, v10, v11
	v_mul_f32_e32 v10, v7, v7
	v_mov_b32_e32 v16, 0xbab64f3b
	v_mov_b32_e32 v14, 0x3c0881c4
	v_fmac_f32_e32 v16, 0x37d75334, v10
	v_mov_b32_e32 v17, 0x3d2aabf7
	v_fmac_f32_e32 v14, 0xb94c1982, v10
	v_mov_b32_e32 v15, 0xbe2aaa9d
	v_fma_f32 v16, v10, v16, v17
	v_fma_f32 v14, v10, v14, v15
	;; [unrolled: 1-line block ×3, first 2 shown]
	v_mul_f32_e32 v14, v10, v14
	v_fma_f32 v10, v10, v16, 1.0
	v_and_b32_e32 v16, 1, v6
	v_fmac_f32_e32 v7, v7, v14
	v_cmp_eq_u32_e32 vcc, 0, v16
	v_lshlrev_b32_e32 v6, 30, v6
	v_cndmask_b32_e64 v7, -v7, v10, vcc
	v_and_b32_e32 v6, 0x80000000, v6
	s_mov_b32 s6, 0xc0a00000
	v_xor_b32_e32 v6, v6, v7
	v_div_scale_f32 v7, s[0:1], v1, v1, s6
	v_rcp_f32_e32 v10, v7
	s_movk_i32 s2, 0x1f8
	v_cmp_class_f32_e64 s[0:1], v3, s2
	v_mov_b32_e32 v11, 0x3c0881c4
	v_fma_f32 v19, -v7, v10, 1.0
	v_fmac_f32_e32 v10, v19, v10
	v_div_scale_f32 v19, vcc, s6, v1, s6
	v_mul_f32_e32 v20, v19, v10
	v_fma_f32 v21, -v7, v20, v19
	v_fmac_f32_e32 v20, v21, v10
	v_fma_f32 v7, -v7, v20, v19
	v_div_scale_f32 v19, s[2:3], v12, v12, v13
	v_rcp_f32_e32 v21, v19
	v_div_fmas_f32 v7, v7, v10, v20
	v_div_fixup_f32 v7, v7, v1, s6
	v_mov_b32_e32 v14, 0xbab64f3b
	v_fma_f32 v10, -v19, v21, 1.0
	v_fmac_f32_e32 v21, v10, v21
	v_div_scale_f32 v10, vcc, v13, v12, v13
	v_mul_f32_e32 v20, v10, v21
	v_fma_f32 v22, -v19, v20, v10
	v_fmac_f32_e32 v20, v22, v21
	v_fma_f32 v10, -v19, v20, v10
	v_div_fmas_f32 v10, v10, v21, v20
	v_div_fixup_f32 v10, v10, v12, v13
	v_mul_f32_e32 v7, v7, v10
	v_mul_f32_e32 v10, v9, v9
	v_fmac_f32_e32 v11, 0xb94c1982, v10
	v_fmac_f32_e32 v15, v10, v11
	;; [unrolled: 1-line block ×3, first 2 shown]
	v_mul_f32_e32 v11, v10, v15
	v_fmac_f32_e32 v17, v10, v14
	v_fmac_f32_e32 v9, v9, v11
	;; [unrolled: 1-line block ×3, first 2 shown]
	v_and_b32_e32 v11, 1, v8
	v_lshlrev_b32_e32 v8, 30, v8
	v_fma_f32 v10, v10, v18, 1.0
	v_cmp_eq_u32_e32 vcc, 0, v11
	v_and_b32_e32 v8, 0x80000000, v8
	v_xor_b32_e32 v3, v5, v3
	v_cndmask_b32_e32 v9, v10, v9, vcc
	v_xor_b32_e32 v3, v3, v8
	v_mov_b32_e32 v16, 0x7fc00000
	v_xor_b32_e32 v3, v3, v9
	v_cndmask_b32_e64 v6, v16, v6, s[0:1]
	v_cndmask_b32_e64 v3, v16, v3, s[0:1]
	s_mov_b32 s0, 0xf800000
	v_mul_f32_e32 v5, 0x4f800000, v1
	v_cmp_gt_f32_e32 vcc, s0, v1
	v_cndmask_b32_e32 v1, v1, v5, vcc
	v_sqrt_f32_e32 v5, v1
	v_mul_f32_e32 v3, v7, v3
	v_fmac_f32_e32 v3, v2, v6
	v_mul_f32_e32 v2, 0x3f4c422a, v3
	v_add_u32_e32 v3, -1, v5
	v_fma_f32 v6, -v3, v5, v1
	v_cmp_ge_f32_e64 s[0:1], 0, v6
	v_add_u32_e32 v6, 1, v5
	v_cndmask_b32_e64 v3, v5, v3, s[0:1]
	v_fma_f32 v5, -v6, v5, v1
	v_cmp_lt_f32_e64 s[0:1], 0, v5
	v_cndmask_b32_e64 v3, v3, v6, s[0:1]
	v_mul_f32_e32 v5, 0x37800000, v3
	v_cndmask_b32_e32 v3, v3, v5, vcc
	v_mov_b32_e32 v5, 0x260
	v_cmp_class_f32_e32 vcc, v1, v5
	v_cndmask_b32_e32 v1, v3, v1, vcc
	v_div_scale_f32 v3, s[0:1], v1, v1, v2
	v_rcp_f32_e32 v5, v3
	v_fma_f32 v6, -v3, v5, 1.0
	v_fmac_f32_e32 v5, v6, v5
	v_div_scale_f32 v6, vcc, v2, v1, v2
	v_mul_f32_e32 v7, v6, v5
	v_fma_f32 v8, -v3, v7, v6
	v_fmac_f32_e32 v7, v8, v5
	v_fma_f32 v3, -v3, v7, v6
	v_div_fmas_f32 v3, v3, v5, v7
	v_div_fixup_f32 v3, v3, v1, v2
.LBB19_224:
	s_or_b64 exec, exec, s[8:9]
	v_add_u32_e32 v4, 0x80, v4
	global_store_dword v0, v3, s[24:25]
	s_or_b64 exec, exec, s[50:51]
	v_cmp_gt_i32_e32 vcc, s57, v4
	s_and_saveexec_b64 s[50:51], vcc
	s_cbranch_execz .LBB19_198
.LBB19_225:
	s_andn2_b64 vcc, exec, s[34:35]
	s_cbranch_vccnz .LBB19_231
; %bb.226:
	s_mov_b32 s6, 0
	s_andn2_b64 vcc, exec, s[48:49]
	v_mov_b32_e32 v2, 0
	v_mov_b32_e32 v0, 0
	s_cbranch_vccnz .LBB19_237
; %bb.227:
	s_add_i32 s58, s58, 1
	s_cmp_eq_u32 s56, 2
	s_cbranch_scc1 .LBB19_232
; %bb.228:
	s_and_b32 s6, s58, 28
	s_mov_b32 s7, 0
	v_mov_b32_e32 v0, 0
	s_mov_b64 s[48:49], s[4:5]
	v_mov_b32_e32 v3, v4
	v_mov_b32_e32 v2, 0
.LBB19_229:                             ; =>This Inner Loop Header: Depth=1
	s_load_dwordx8 s[16:23], s[48:49], 0x4
	s_load_dwordx4 s[0:3], s[48:49], 0x24
	s_load_dwordx8 s[8:15], s[46:47], 0x0
	s_add_u32 s48, s48, 48
	s_addc_u32 s49, s49, 0
	s_waitcnt lgkmcnt(0)
	v_mul_hi_u32 v1, s17, v3
	v_add_u32_e32 v1, v3, v1
	v_lshrrev_b32_e32 v1, s18, v1
	v_mul_lo_u32 v5, v1, s16
	v_mul_hi_u32 v6, s20, v1
	v_sub_u32_e32 v3, v3, v5
	v_add_u32_e32 v5, v1, v6
	v_lshrrev_b32_e32 v5, s21, v5
	v_mul_lo_u32 v7, v5, s19
	v_mul_hi_u32 v8, s23, v5
	v_sub_u32_e32 v1, v1, v7
	v_add_u32_e32 v7, v5, v8
	v_mul_lo_u32 v6, v3, s9
	v_mul_lo_u32 v3, v3, s8
	;; [unrolled: 1-line block ×4, first 2 shown]
	v_lshrrev_b32_e32 v7, s0, v7
	v_add3_u32 v0, v3, v0, v1
	v_mul_hi_u32 v3, s2, v7
	v_add_u32_e32 v3, v7, v3
	v_lshrrev_b32_e32 v3, s3, v3
	s_add_i32 s7, s7, 4
	v_add3_u32 v1, v6, v2, v8
	v_mul_lo_u32 v2, v7, s22
	v_mul_lo_u32 v6, v3, s1
	s_add_u32 s46, s46, 32
	v_sub_u32_e32 v2, v5, v2
	v_sub_u32_e32 v6, v7, v6
	s_addc_u32 s47, s47, 0
	v_mul_lo_u32 v5, v2, s12
	v_mul_lo_u32 v2, v2, s13
	;; [unrolled: 1-line block ×4, first 2 shown]
	s_cmp_eq_u32 s6, s7
	v_add3_u32 v2, v2, v1, v6
	v_add3_u32 v0, v5, v0, v7
	s_cbranch_scc0 .LBB19_229
; %bb.230:
	v_mov_b32_e32 v1, v2
	s_branch .LBB19_233
.LBB19_231:
                                        ; implicit-def: $vgpr2
                                        ; implicit-def: $vgpr0
	s_branch .LBB19_238
.LBB19_232:
	s_mov_b32 s7, s6
	v_pk_mov_b32 v[0:1], s[6:7], s[6:7] op_sel:[0,1]
                                        ; implicit-def: $vgpr2
	v_mov_b32_e32 v3, v4
.LBB19_233:
	s_and_b32 s7, s58, 3
	s_cmp_eq_u32 s7, 0
	s_cbranch_scc1 .LBB19_237
; %bb.234:
	s_lshl_b32 s0, s6, 3
	s_add_u32 s0, s0, s4
	s_addc_u32 s1, s5, 0
	s_add_u32 s0, s0, 0xc4
	s_addc_u32 s1, s1, 0
	s_mul_i32 s2, s6, 12
	s_add_u32 s2, s4, s2
	s_addc_u32 s3, s5, 0
.LBB19_235:                             ; =>This Inner Loop Header: Depth=1
	s_load_dwordx2 s[8:9], s[2:3], 0x4
	s_load_dword s6, s[2:3], 0xc
	s_load_dwordx2 s[10:11], s[0:1], 0x0
	v_mov_b32_e32 v2, v1
	s_add_u32 s2, s2, 12
	s_waitcnt lgkmcnt(0)
	v_mul_hi_u32 v1, s9, v3
	v_add_u32_e32 v1, v3, v1
	v_lshrrev_b32_e32 v1, s6, v1
	s_addc_u32 s3, s3, 0
	v_mul_lo_u32 v5, v1, s8
	s_add_u32 s0, s0, 8
	v_sub_u32_e32 v5, v3, v5
	v_mov_b32_e32 v3, v1
	s_addc_u32 s1, s1, 0
	s_add_i32 s7, s7, -1
	v_mad_u64_u32 v[6:7], s[8:9], v5, s11, v[2:3]
	v_mad_u64_u32 v[0:1], s[8:9], v5, s10, v[0:1]
	s_cmp_lg_u32 s7, 0
	v_mov_b32_e32 v1, v6
	s_cbranch_scc1 .LBB19_235
; %bb.236:
	v_mov_b32_e32 v2, v1
.LBB19_237:
	s_cbranch_execnz .LBB19_240
.LBB19_238:
	s_waitcnt lgkmcnt(0)
	v_mul_hi_u32 v0, s37, v4
	v_add_u32_e32 v0, v4, v0
	v_lshrrev_b32_e32 v1, s38, v0
	v_mul_lo_u32 v0, v1, s36
	v_sub_u32_e32 v0, v4, v0
	v_mul_lo_u32 v2, v0, s29
	s_andn2_b64 vcc, exec, s[44:45]
	v_mul_lo_u32 v0, v0, s28
	s_cbranch_vccnz .LBB19_240
; %bb.239:
	v_mul_hi_u32 v3, s42, v1
	v_add_u32_e32 v3, v1, v3
	v_lshrrev_b32_e32 v3, s43, v3
	v_mul_lo_u32 v3, v3, s39
	v_sub_u32_e32 v3, v1, v3
	v_mad_u64_u32 v[0:1], s[0:1], v3, s30, v[0:1]
	v_mad_u64_u32 v[2:3], s[0:1], v3, s31, v[2:3]
.LBB19_240:
	s_waitcnt lgkmcnt(0)
	global_load_dword v1, v2, s[26:27]
	s_mov_b32 s0, 0x40a00000
                                        ; implicit-def: $vgpr3
	s_waitcnt vmcnt(0)
	v_cmp_gt_f32_e32 vcc, 0, v1
	v_cndmask_b32_e64 v1, v1, -v1, vcc
	v_cmp_ge_f32_e32 vcc, s0, v1
	v_mul_f32_e32 v2, v1, v1
	s_and_saveexec_b64 s[0:1], vcc
	s_xor_b64 s[0:1], exec, s[0:1]
	s_cbranch_execz .LBB19_246
; %bb.241:
	s_mov_b32 s2, 0x3727c5ac
	v_cmp_ngt_f32_e32 vcc, s2, v1
                                        ; implicit-def: $vgpr3
	s_and_saveexec_b64 s[2:3], vcc
	s_xor_b64 s[2:3], exec, s[2:3]
	s_cbranch_execz .LBB19_243
; %bb.242:
	v_mov_b32_e32 v1, 0x43f9c815
	v_fmac_f32_e32 v1, 0, v2
	v_mov_b32_e32 v3, 0x4829b65a
	v_fmac_f32_e32 v3, v2, v1
	v_mov_b32_e32 v1, 0x4c38c9a1
	v_fmac_f32_e32 v1, v2, v3
	v_mov_b32_e32 v3, 0x5026ad80
	v_fmac_f32_e32 v3, v2, v1
	s_mov_b32 s6, 0xcf8ee29d
	v_mul_f32_e32 v4, 0, v2
	v_mul_f32_e32 v5, v2, v3
	s_mov_b32 s7, 0x53f5f59c
	v_pk_add_f32 v[4:5], v[4:5], s[6:7]
	s_mov_b32 s6, 0x53e3ba8e
	s_mov_b32 s7, 0x578d3514
	v_pk_fma_f32 v[4:5], v[2:3], v[4:5], s[6:7] op_sel_hi:[0,1,1]
	s_mov_b32 s6, 0xd762b0a7
	s_mov_b32 s7, 0x5ae20a0c
	v_pk_fma_f32 v[4:5], v[2:3], v[4:5], s[6:7] op_sel_hi:[0,1,1]
	;; [unrolled: 3-line block ×3, first 2 shown]
	s_mov_b32 s6, 0xc0b90fdc
	s_mov_b32 s7, 0xc1f3c525
	v_pk_add_f32 v[2:3], v[2:3], s[6:7] op_sel_hi:[0,1]
	v_mul_f32_e32 v1, v2, v3
	v_mul_f32_e32 v1, v1, v4
	v_div_scale_f32 v2, s[6:7], v5, v5, v1
	v_rcp_f32_e32 v3, v2
	v_fma_f32 v4, -v2, v3, 1.0
	v_fmac_f32_e32 v3, v4, v3
	v_div_scale_f32 v4, vcc, v1, v5, v1
	v_mul_f32_e32 v6, v4, v3
	v_fma_f32 v7, -v2, v6, v4
	v_fmac_f32_e32 v6, v7, v3
	v_fma_f32 v2, -v2, v6, v4
	v_div_fmas_f32 v2, v2, v3, v6
	v_div_fixup_f32 v3, v2, v5, v1
                                        ; implicit-def: $vgpr2
.LBB19_243:
	s_andn2_saveexec_b64 s[2:3], s[2:3]
; %bb.244:
	s_mov_b32 s6, 0xbe800000
	v_fma_f32 v3, v2, s6, 1.0
; %bb.245:
	s_or_b64 exec, exec, s[2:3]
                                        ; implicit-def: $vgpr2
                                        ; implicit-def: $vgpr1
.LBB19_246:
	s_andn2_saveexec_b64 s[8:9], s[0:1]
	s_cbranch_execz .LBB19_256
; %bb.247:
	v_add_f32_e32 v3, 0xbf490fdb, v1
	s_brev_b32 s0, 18
	v_and_b32_e32 v4, 0x7fffffff, v3
	v_cmp_nlt_f32_e64 s[10:11], |v3|, s0
                                        ; implicit-def: $vgpr5
                                        ; implicit-def: $vgpr6
	s_and_saveexec_b64 s[0:1], s[10:11]
	s_xor_b64 s[12:13], exec, s[0:1]
	s_cbranch_execz .LBB19_249
; %bb.248:
	v_lshrrev_b32_e32 v5, 23, v4
	v_add_u32_e32 v5, 0xffffff88, v5
	v_not_b32_e32 v6, 63
	v_cmp_lt_u32_e32 vcc, 63, v5
	v_cndmask_b32_e32 v6, 0, v6, vcc
	v_add_u32_e32 v5, v6, v5
	v_not_b32_e32 v6, 31
	v_cmp_lt_u32_e64 s[0:1], 31, v5
	v_cndmask_b32_e64 v8, 0, v6, s[0:1]
	v_add_u32_e32 v5, v8, v5
	v_cmp_lt_u32_e64 s[2:3], 31, v5
	v_cndmask_b32_e64 v6, 0, v6, s[2:3]
	v_add_u32_e32 v5, v6, v5
	v_and_b32_e32 v6, 0x7fffff, v4
	v_or_b32_e32 v20, 0x800000, v6
	s_mov_b32 s6, 0xfe5163ab
	v_mad_u64_u32 v[8:9], s[6:7], v20, s6, 0
	v_mov_b32_e32 v7, 0
	v_mov_b32_e32 v6, v9
	s_mov_b32 s6, 0x3c439041
	v_mad_u64_u32 v[10:11], s[6:7], v20, s6, v[6:7]
	v_mov_b32_e32 v6, v11
	s_mov_b32 s6, 0xdb629599
	v_mad_u64_u32 v[12:13], s[6:7], v20, s6, v[6:7]
	;; [unrolled: 3-line block ×6, first 2 shown]
	v_cndmask_b32_e32 v9, v18, v14, vcc
	v_cndmask_b32_e32 v6, v6, v16, vcc
	;; [unrolled: 1-line block ×3, first 2 shown]
	v_cndmask_b32_e64 v11, v6, v9, s[0:1]
	v_cndmask_b32_e64 v6, v7, v6, s[0:1]
	v_cndmask_b32_e32 v7, v16, v12, vcc
	v_cndmask_b32_e64 v9, v9, v7, s[0:1]
	v_cndmask_b32_e64 v6, v6, v11, s[2:3]
	;; [unrolled: 1-line block ×3, first 2 shown]
	v_sub_u32_e32 v13, 32, v5
	v_alignbit_b32 v15, v6, v11, v13
	v_cmp_eq_u32_e64 s[6:7], 0, v5
	v_cndmask_b32_e64 v5, v15, v6, s[6:7]
	v_cndmask_b32_e32 v6, v14, v10, vcc
	v_cndmask_b32_e64 v7, v7, v6, s[0:1]
	v_cndmask_b32_e64 v9, v9, v7, s[2:3]
	v_alignbit_b32 v10, v11, v9, v13
	v_cndmask_b32_e32 v8, v12, v8, vcc
	v_cndmask_b32_e64 v10, v10, v11, s[6:7]
	v_bfe_u32 v15, v5, 29, 1
	v_cndmask_b32_e64 v6, v6, v8, s[0:1]
	v_alignbit_b32 v11, v5, v10, 30
	v_sub_u32_e32 v16, 0, v15
	v_cndmask_b32_e64 v6, v7, v6, s[2:3]
	v_xor_b32_e32 v17, v11, v16
	v_alignbit_b32 v7, v9, v6, v13
	v_cndmask_b32_e64 v7, v7, v9, s[6:7]
	v_ffbh_u32_e32 v9, v17
	v_add_u32_e32 v9, 1, v9
	v_cmp_ne_u32_e32 vcc, v11, v16
	v_alignbit_b32 v8, v10, v7, 30
	v_cndmask_b32_e32 v9, 33, v9, vcc
	v_alignbit_b32 v6, v7, v6, 30
	v_xor_b32_e32 v8, v8, v16
	v_sub_u32_e32 v10, 32, v9
	v_xor_b32_e32 v6, v6, v16
	v_alignbit_b32 v11, v17, v8, v10
	v_alignbit_b32 v6, v8, v6, v10
	;; [unrolled: 1-line block ×3, first 2 shown]
	v_ffbh_u32_e32 v8, v7
	v_min_u32_e32 v8, 32, v8
	v_lshrrev_b32_e32 v14, 29, v5
	v_sub_u32_e32 v10, 31, v8
	v_alignbit_b32 v6, v7, v6, v10
	v_lshlrev_b32_e32 v7, 31, v14
	v_or_b32_e32 v10, 0x33800000, v7
	v_add_lshl_u32 v8, v8, v9, 23
	v_lshrrev_b32_e32 v6, 9, v6
	v_sub_u32_e32 v8, v10, v8
	v_or_b32_e32 v6, v8, v6
	v_alignbit_b32 v8, v9, v11, 9
	v_or_b32_e32 v7, v8, v7
	v_xor_b32_e32 v7, 1.0, v7
	s_mov_b32 s0, 0x3fc90fda
	v_mul_f32_e32 v8, 0x3fc90fda, v7
	v_fma_f32 v9, v7, s0, -v8
	v_fmac_f32_e32 v9, 0x33a22168, v7
	v_fmac_f32_e32 v9, 0x3fc90fda, v6
	v_lshrrev_b32_e32 v5, 30, v5
	v_add_f32_e32 v6, v8, v9
	v_add_u32_e32 v5, v15, v5
	s_andn2_saveexec_b64 s[0:1], s[12:13]
	s_branch .LBB19_250
.LBB19_249:
	s_andn2_saveexec_b64 s[0:1], s[12:13]
.LBB19_250:
	s_mov_b32 s2, 0x3f22f983
	v_mul_f32_e64 v5, |v3|, s2
	v_rndne_f32_e32 v7, v5
	s_mov_b32 s2, 0xbfc90fda
	v_cvt_i32_f32_e32 v5, v7
	v_fma_f32 v6, v7, s2, |v3|
	v_fmac_f32_e32 v6, 0xb3a22168, v7
	v_fmac_f32_e32 v6, 0xa7c234c4, v7
; %bb.251:
	s_or_b64 exec, exec, s[0:1]
                                        ; implicit-def: $vgpr7
                                        ; implicit-def: $vgpr8
	s_and_saveexec_b64 s[0:1], s[10:11]
	s_xor_b64 s[10:11], exec, s[0:1]
	s_cbranch_execz .LBB19_253
; %bb.252:
	v_lshrrev_b32_e32 v7, 23, v4
	v_add_u32_e32 v7, 0xffffff88, v7
	v_not_b32_e32 v8, 63
	v_cmp_lt_u32_e32 vcc, 63, v7
	v_cndmask_b32_e32 v8, 0, v8, vcc
	v_add_u32_e32 v7, v8, v7
	v_not_b32_e32 v8, 31
	v_cmp_lt_u32_e64 s[0:1], 31, v7
	v_cndmask_b32_e64 v10, 0, v8, s[0:1]
	v_add_u32_e32 v7, v10, v7
	v_cmp_lt_u32_e64 s[2:3], 31, v7
	v_cndmask_b32_e64 v8, 0, v8, s[2:3]
	v_add_u32_e32 v7, v8, v7
	v_and_b32_e32 v8, 0x7fffff, v4
	v_or_b32_e32 v22, 0x800000, v8
	s_mov_b32 s6, 0xfe5163ab
	v_mad_u64_u32 v[10:11], s[6:7], v22, s6, 0
	v_mov_b32_e32 v9, 0
	v_mov_b32_e32 v8, v11
	s_mov_b32 s6, 0x3c439041
	v_mad_u64_u32 v[12:13], s[6:7], v22, s6, v[8:9]
	v_mov_b32_e32 v8, v13
	s_mov_b32 s6, 0xdb629599
	v_mad_u64_u32 v[14:15], s[6:7], v22, s6, v[8:9]
	;; [unrolled: 3-line block ×6, first 2 shown]
	v_cndmask_b32_e32 v11, v20, v16, vcc
	v_cndmask_b32_e32 v8, v8, v18, vcc
	;; [unrolled: 1-line block ×3, first 2 shown]
	v_cndmask_b32_e64 v13, v8, v11, s[0:1]
	v_cndmask_b32_e64 v8, v9, v8, s[0:1]
	v_cndmask_b32_e32 v9, v18, v14, vcc
	v_cndmask_b32_e64 v11, v11, v9, s[0:1]
	v_cndmask_b32_e64 v8, v8, v13, s[2:3]
	;; [unrolled: 1-line block ×3, first 2 shown]
	v_sub_u32_e32 v15, 32, v7
	v_alignbit_b32 v17, v8, v13, v15
	v_cmp_eq_u32_e64 s[6:7], 0, v7
	v_cndmask_b32_e64 v7, v17, v8, s[6:7]
	v_cndmask_b32_e32 v8, v16, v12, vcc
	v_cndmask_b32_e64 v9, v9, v8, s[0:1]
	v_cndmask_b32_e64 v11, v11, v9, s[2:3]
	v_alignbit_b32 v12, v13, v11, v15
	v_cndmask_b32_e32 v10, v14, v10, vcc
	v_cndmask_b32_e64 v12, v12, v13, s[6:7]
	v_bfe_u32 v17, v7, 29, 1
	v_cndmask_b32_e64 v8, v8, v10, s[0:1]
	v_alignbit_b32 v13, v7, v12, 30
	v_sub_u32_e32 v18, 0, v17
	v_cndmask_b32_e64 v8, v9, v8, s[2:3]
	v_xor_b32_e32 v19, v13, v18
	v_alignbit_b32 v9, v11, v8, v15
	v_cndmask_b32_e64 v9, v9, v11, s[6:7]
	v_ffbh_u32_e32 v11, v19
	v_add_u32_e32 v11, 1, v11
	v_cmp_ne_u32_e32 vcc, v13, v18
	v_alignbit_b32 v10, v12, v9, 30
	v_cndmask_b32_e32 v11, 33, v11, vcc
	v_alignbit_b32 v8, v9, v8, 30
	v_xor_b32_e32 v10, v10, v18
	v_sub_u32_e32 v12, 32, v11
	v_xor_b32_e32 v8, v8, v18
	v_alignbit_b32 v13, v19, v10, v12
	v_alignbit_b32 v8, v10, v8, v12
	;; [unrolled: 1-line block ×3, first 2 shown]
	v_ffbh_u32_e32 v10, v9
	v_min_u32_e32 v10, 32, v10
	v_lshrrev_b32_e32 v16, 29, v7
	v_sub_u32_e32 v12, 31, v10
	v_alignbit_b32 v8, v9, v8, v12
	v_lshlrev_b32_e32 v9, 31, v16
	v_or_b32_e32 v12, 0x33800000, v9
	v_add_lshl_u32 v10, v10, v11, 23
	v_lshrrev_b32_e32 v8, 9, v8
	v_sub_u32_e32 v10, v12, v10
	v_or_b32_e32 v8, v10, v8
	v_alignbit_b32 v10, v11, v13, 9
	v_or_b32_e32 v9, v10, v9
	v_xor_b32_e32 v9, 1.0, v9
	s_mov_b32 s0, 0x3fc90fda
	v_mul_f32_e32 v10, 0x3fc90fda, v9
	v_fma_f32 v11, v9, s0, -v10
	v_fmac_f32_e32 v11, 0x33a22168, v9
	v_fmac_f32_e32 v11, 0x3fc90fda, v8
	v_lshrrev_b32_e32 v7, 30, v7
	v_add_f32_e32 v8, v10, v11
	v_add_u32_e32 v7, v17, v7
	s_andn2_saveexec_b64 s[0:1], s[10:11]
	s_cbranch_execnz .LBB19_254
	s_branch .LBB19_255
.LBB19_253:
	s_andn2_saveexec_b64 s[0:1], s[10:11]
.LBB19_254:
	s_mov_b32 s2, 0x3f22f983
	v_mul_f32_e64 v7, |v3|, s2
	v_rndne_f32_e32 v9, v7
	s_mov_b32 s2, 0xbfc90fda
	v_cvt_i32_f32_e32 v7, v9
	v_fma_f32 v8, v9, s2, |v3|
	v_fmac_f32_e32 v8, 0xb3a22168, v9
	v_fmac_f32_e32 v8, 0xa7c234c4, v9
.LBB19_255:
	s_or_b64 exec, exec, s[0:1]
	s_mov_b32 s2, 0x41c80000
	v_div_scale_f32 v9, s[0:1], v2, v2, s2
	v_rcp_f32_e32 v10, v9
	v_div_scale_f32 v11, vcc, s2, v2, s2
	v_mov_b32_e32 v17, 0xbf000004
	v_fma_f32 v12, -v9, v10, 1.0
	v_fmac_f32_e32 v10, v12, v10
	v_mul_f32_e32 v12, v11, v10
	v_fma_f32 v13, -v9, v12, v11
	v_fmac_f32_e32 v12, v13, v10
	v_fma_f32 v9, -v9, v12, v11
	v_div_fmas_f32 v9, v9, v10, v12
	v_div_fixup_f32 v2, v9, v2, s2
	v_mov_b32_e32 v9, 0x3a50e985
	v_fmac_f32_e32 v9, 0, v2
	v_mov_b32_e32 v10, 0x3da9a586
	v_fmac_f32_e32 v10, v2, v9
	;; [unrolled: 2-line block ×12, first 2 shown]
	v_fma_f32 v9, v2, v11, 1.0
	v_mov_b32_e32 v11, 0xbc3a3a12
	v_fmac_f32_e32 v11, 0, v2
	v_mov_b32_e32 v12, 0xbfa429da
	v_fmac_f32_e32 v12, v2, v11
	;; [unrolled: 2-line block ×9, first 2 shown]
	v_mov_b32_e32 v13, 0x44561b86
	v_fma_f32 v10, v2, v10, 1.0
	v_fmac_f32_e32 v13, v2, v11
	v_mov_b32_e32 v11, 0x4572a66e
	v_div_scale_f32 v14, s[0:1], v9, v9, v10
	v_fmac_f32_e32 v11, v2, v13
	v_mov_b32_e32 v13, 0x45e243be
	v_rcp_f32_e32 v15, v14
	v_fmac_f32_e32 v13, v2, v11
	v_mov_b32_e32 v11, 0x45b955d1
	v_fmac_f32_e32 v11, v2, v13
	v_mov_b32_e32 v13, 0x4500e17e
	v_fmac_f32_e32 v13, v2, v11
	v_mov_b32_e32 v11, 0x43720178
	v_fmac_f32_e32 v11, v2, v13
	v_fma_f32 v2, -v14, v15, 1.0
	v_fmac_f32_e32 v15, v2, v15
	v_div_scale_f32 v2, vcc, v10, v9, v10
	v_mul_f32_e32 v13, v2, v15
	v_fma_f32 v16, -v14, v13, v2
	v_fmac_f32_e32 v13, v16, v15
	v_fma_f32 v2, -v14, v13, v2
	v_div_fmas_f32 v2, v2, v15, v13
	v_div_fixup_f32 v2, v2, v9, v10
	v_mul_f32_e32 v9, v6, v6
	v_mov_b32_e32 v15, 0xbab64f3b
	v_mov_b32_e32 v13, 0x3c0881c4
	v_fmac_f32_e32 v15, 0x37d75334, v9
	v_mov_b32_e32 v16, 0x3d2aabf7
	v_fmac_f32_e32 v13, 0xb94c1982, v9
	v_mov_b32_e32 v14, 0xbe2aaa9d
	v_fma_f32 v15, v9, v15, v16
	v_fma_f32 v13, v9, v13, v14
	;; [unrolled: 1-line block ×3, first 2 shown]
	v_mul_f32_e32 v13, v9, v13
	v_fma_f32 v9, v9, v15, 1.0
	v_and_b32_e32 v15, 1, v5
	v_fmac_f32_e32 v6, v6, v13
	v_cmp_eq_u32_e32 vcc, 0, v15
	v_lshlrev_b32_e32 v5, 30, v5
	v_cndmask_b32_e64 v6, -v6, v9, vcc
	v_and_b32_e32 v5, 0x80000000, v5
	s_mov_b32 s6, 0xc0a00000
	v_xor_b32_e32 v5, v5, v6
	v_div_scale_f32 v6, s[0:1], v1, v1, s6
	v_rcp_f32_e32 v9, v6
	s_movk_i32 s2, 0x1f8
	v_cmp_class_f32_e64 s[0:1], v3, s2
	v_mov_b32_e32 v10, 0x3c0881c4
	v_fma_f32 v18, -v6, v9, 1.0
	v_fmac_f32_e32 v9, v18, v9
	v_div_scale_f32 v18, vcc, s6, v1, s6
	v_mul_f32_e32 v19, v18, v9
	v_fma_f32 v20, -v6, v19, v18
	v_fmac_f32_e32 v19, v20, v9
	v_fma_f32 v6, -v6, v19, v18
	v_div_scale_f32 v18, s[2:3], v11, v11, v12
	v_rcp_f32_e32 v20, v18
	v_div_fmas_f32 v6, v6, v9, v19
	v_div_fixup_f32 v6, v6, v1, s6
	v_mov_b32_e32 v13, 0xbab64f3b
	v_fma_f32 v9, -v18, v20, 1.0
	v_fmac_f32_e32 v20, v9, v20
	v_div_scale_f32 v9, vcc, v12, v11, v12
	v_mul_f32_e32 v19, v9, v20
	v_fma_f32 v21, -v18, v19, v9
	v_fmac_f32_e32 v19, v21, v20
	v_fma_f32 v9, -v18, v19, v9
	v_div_fmas_f32 v9, v9, v20, v19
	v_div_fixup_f32 v9, v9, v11, v12
	v_mul_f32_e32 v6, v6, v9
	v_mul_f32_e32 v9, v8, v8
	v_fmac_f32_e32 v10, 0xb94c1982, v9
	v_fmac_f32_e32 v14, v9, v10
	;; [unrolled: 1-line block ×3, first 2 shown]
	v_mul_f32_e32 v10, v9, v14
	v_fmac_f32_e32 v16, v9, v13
	v_fmac_f32_e32 v8, v8, v10
	;; [unrolled: 1-line block ×3, first 2 shown]
	v_and_b32_e32 v10, 1, v7
	v_lshlrev_b32_e32 v7, 30, v7
	v_fma_f32 v9, v9, v17, 1.0
	v_cmp_eq_u32_e32 vcc, 0, v10
	v_and_b32_e32 v7, 0x80000000, v7
	v_xor_b32_e32 v3, v4, v3
	v_cndmask_b32_e32 v8, v9, v8, vcc
	v_xor_b32_e32 v3, v3, v7
	v_mov_b32_e32 v15, 0x7fc00000
	v_xor_b32_e32 v3, v3, v8
	v_cndmask_b32_e64 v5, v15, v5, s[0:1]
	v_cndmask_b32_e64 v3, v15, v3, s[0:1]
	s_mov_b32 s0, 0xf800000
	v_mul_f32_e32 v4, 0x4f800000, v1
	v_cmp_gt_f32_e32 vcc, s0, v1
	v_cndmask_b32_e32 v1, v1, v4, vcc
	v_sqrt_f32_e32 v4, v1
	v_mul_f32_e32 v3, v6, v3
	v_fmac_f32_e32 v3, v2, v5
	v_mul_f32_e32 v2, 0x3f4c422a, v3
	v_add_u32_e32 v3, -1, v4
	v_fma_f32 v5, -v3, v4, v1
	v_cmp_ge_f32_e64 s[0:1], 0, v5
	v_add_u32_e32 v5, 1, v4
	v_cndmask_b32_e64 v3, v4, v3, s[0:1]
	v_fma_f32 v4, -v5, v4, v1
	v_cmp_lt_f32_e64 s[0:1], 0, v4
	v_cndmask_b32_e64 v3, v3, v5, s[0:1]
	v_mul_f32_e32 v4, 0x37800000, v3
	v_cndmask_b32_e32 v3, v3, v4, vcc
	v_mov_b32_e32 v4, 0x260
	v_cmp_class_f32_e32 vcc, v1, v4
	v_cndmask_b32_e32 v1, v3, v1, vcc
	v_div_scale_f32 v3, s[0:1], v1, v1, v2
	v_rcp_f32_e32 v4, v3
	v_fma_f32 v5, -v3, v4, 1.0
	v_fmac_f32_e32 v4, v5, v4
	v_div_scale_f32 v5, vcc, v2, v1, v2
	v_mul_f32_e32 v6, v5, v4
	v_fma_f32 v7, -v3, v6, v5
	v_fmac_f32_e32 v6, v7, v4
	v_fma_f32 v3, -v3, v6, v5
	v_div_fmas_f32 v3, v3, v4, v6
	v_div_fixup_f32 v3, v3, v1, v2
.LBB19_256:
	s_or_b64 exec, exec, s[8:9]
	global_store_dword v0, v3, s[24:25]
	s_or_b64 exec, exec, s[50:51]
                                        ; implicit-def: $vgpr9
                                        ; implicit-def: $vgpr4
	s_andn2_saveexec_b64 s[0:1], s[40:41]
	s_cbranch_execz .LBB19_199
	s_branch .LBB19_9
	.section	.rodata,"a",@progbits
	.p2align	6, 0x0
	.amdhsa_kernel _ZN2at6native32elementwise_kernel_manual_unrollILi128ELi4EZNS0_22gpu_kernel_impl_nocastIZZZNS0_12_GLOBAL__N_121bessel_j0_kernel_cudaERNS_18TensorIteratorBaseEENKUlvE_clEvENKUlvE0_clEvEUlfE_EEvS5_RKT_EUlibE_EEviT1_
		.amdhsa_group_segment_fixed_size 0
		.amdhsa_private_segment_fixed_size 0
		.amdhsa_kernarg_size 360
		.amdhsa_user_sgpr_count 6
		.amdhsa_user_sgpr_private_segment_buffer 1
		.amdhsa_user_sgpr_dispatch_ptr 0
		.amdhsa_user_sgpr_queue_ptr 0
		.amdhsa_user_sgpr_kernarg_segment_ptr 1
		.amdhsa_user_sgpr_dispatch_id 0
		.amdhsa_user_sgpr_flat_scratch_init 0
		.amdhsa_user_sgpr_kernarg_preload_length 0
		.amdhsa_user_sgpr_kernarg_preload_offset 0
		.amdhsa_user_sgpr_private_segment_size 0
		.amdhsa_uses_dynamic_stack 0
		.amdhsa_system_sgpr_private_segment_wavefront_offset 0
		.amdhsa_system_sgpr_workgroup_id_x 1
		.amdhsa_system_sgpr_workgroup_id_y 0
		.amdhsa_system_sgpr_workgroup_id_z 0
		.amdhsa_system_sgpr_workgroup_info 0
		.amdhsa_system_vgpr_workitem_id 0
		.amdhsa_next_free_vgpr 30
		.amdhsa_next_free_sgpr 60
		.amdhsa_accum_offset 32
		.amdhsa_reserve_vcc 1
		.amdhsa_reserve_flat_scratch 0
		.amdhsa_float_round_mode_32 0
		.amdhsa_float_round_mode_16_64 0
		.amdhsa_float_denorm_mode_32 3
		.amdhsa_float_denorm_mode_16_64 3
		.amdhsa_dx10_clamp 1
		.amdhsa_ieee_mode 1
		.amdhsa_fp16_overflow 0
		.amdhsa_tg_split 0
		.amdhsa_exception_fp_ieee_invalid_op 0
		.amdhsa_exception_fp_denorm_src 0
		.amdhsa_exception_fp_ieee_div_zero 0
		.amdhsa_exception_fp_ieee_overflow 0
		.amdhsa_exception_fp_ieee_underflow 0
		.amdhsa_exception_fp_ieee_inexact 0
		.amdhsa_exception_int_div_zero 0
	.end_amdhsa_kernel
	.section	.text._ZN2at6native32elementwise_kernel_manual_unrollILi128ELi4EZNS0_22gpu_kernel_impl_nocastIZZZNS0_12_GLOBAL__N_121bessel_j0_kernel_cudaERNS_18TensorIteratorBaseEENKUlvE_clEvENKUlvE0_clEvEUlfE_EEvS5_RKT_EUlibE_EEviT1_,"axG",@progbits,_ZN2at6native32elementwise_kernel_manual_unrollILi128ELi4EZNS0_22gpu_kernel_impl_nocastIZZZNS0_12_GLOBAL__N_121bessel_j0_kernel_cudaERNS_18TensorIteratorBaseEENKUlvE_clEvENKUlvE0_clEvEUlfE_EEvS5_RKT_EUlibE_EEviT1_,comdat
.Lfunc_end19:
	.size	_ZN2at6native32elementwise_kernel_manual_unrollILi128ELi4EZNS0_22gpu_kernel_impl_nocastIZZZNS0_12_GLOBAL__N_121bessel_j0_kernel_cudaERNS_18TensorIteratorBaseEENKUlvE_clEvENKUlvE0_clEvEUlfE_EEvS5_RKT_EUlibE_EEviT1_, .Lfunc_end19-_ZN2at6native32elementwise_kernel_manual_unrollILi128ELi4EZNS0_22gpu_kernel_impl_nocastIZZZNS0_12_GLOBAL__N_121bessel_j0_kernel_cudaERNS_18TensorIteratorBaseEENKUlvE_clEvENKUlvE0_clEvEUlfE_EEvS5_RKT_EUlibE_EEviT1_
                                        ; -- End function
	.section	.AMDGPU.csdata,"",@progbits
; Kernel info:
; codeLenInByte = 28796
; NumSgprs: 64
; NumVgprs: 30
; NumAgprs: 0
; TotalNumVgprs: 30
; ScratchSize: 0
; MemoryBound: 0
; FloatMode: 240
; IeeeMode: 1
; LDSByteSize: 0 bytes/workgroup (compile time only)
; SGPRBlocks: 7
; VGPRBlocks: 3
; NumSGPRsForWavesPerEU: 64
; NumVGPRsForWavesPerEU: 30
; AccumOffset: 32
; Occupancy: 8
; WaveLimiterHint : 1
; COMPUTE_PGM_RSRC2:SCRATCH_EN: 0
; COMPUTE_PGM_RSRC2:USER_SGPR: 6
; COMPUTE_PGM_RSRC2:TRAP_HANDLER: 0
; COMPUTE_PGM_RSRC2:TGID_X_EN: 1
; COMPUTE_PGM_RSRC2:TGID_Y_EN: 0
; COMPUTE_PGM_RSRC2:TGID_Z_EN: 0
; COMPUTE_PGM_RSRC2:TIDIG_COMP_CNT: 0
; COMPUTE_PGM_RSRC3_GFX90A:ACCUM_OFFSET: 7
; COMPUTE_PGM_RSRC3_GFX90A:TG_SPLIT: 0
	.section	.text._ZN2at6native32elementwise_kernel_manual_unrollILi128ELi4EZNS0_15gpu_kernel_implIZZZNS0_12_GLOBAL__N_121bessel_j0_kernel_cudaERNS_18TensorIteratorBaseEENKUlvE_clEvENKUlvE0_clEvEUlfE_EEvS5_RKT_EUlibE_EEviT1_,"axG",@progbits,_ZN2at6native32elementwise_kernel_manual_unrollILi128ELi4EZNS0_15gpu_kernel_implIZZZNS0_12_GLOBAL__N_121bessel_j0_kernel_cudaERNS_18TensorIteratorBaseEENKUlvE_clEvENKUlvE0_clEvEUlfE_EEvS5_RKT_EUlibE_EEviT1_,comdat
	.globl	_ZN2at6native32elementwise_kernel_manual_unrollILi128ELi4EZNS0_15gpu_kernel_implIZZZNS0_12_GLOBAL__N_121bessel_j0_kernel_cudaERNS_18TensorIteratorBaseEENKUlvE_clEvENKUlvE0_clEvEUlfE_EEvS5_RKT_EUlibE_EEviT1_ ; -- Begin function _ZN2at6native32elementwise_kernel_manual_unrollILi128ELi4EZNS0_15gpu_kernel_implIZZZNS0_12_GLOBAL__N_121bessel_j0_kernel_cudaERNS_18TensorIteratorBaseEENKUlvE_clEvENKUlvE0_clEvEUlfE_EEvS5_RKT_EUlibE_EEviT1_
	.p2align	8
	.type	_ZN2at6native32elementwise_kernel_manual_unrollILi128ELi4EZNS0_15gpu_kernel_implIZZZNS0_12_GLOBAL__N_121bessel_j0_kernel_cudaERNS_18TensorIteratorBaseEENKUlvE_clEvENKUlvE0_clEvEUlfE_EEvS5_RKT_EUlibE_EEviT1_,@function
_ZN2at6native32elementwise_kernel_manual_unrollILi128ELi4EZNS0_15gpu_kernel_implIZZZNS0_12_GLOBAL__N_121bessel_j0_kernel_cudaERNS_18TensorIteratorBaseEENKUlvE_clEvENKUlvE0_clEvEUlfE_EEvS5_RKT_EUlibE_EEviT1_: ; @_ZN2at6native32elementwise_kernel_manual_unrollILi128ELi4EZNS0_15gpu_kernel_implIZZZNS0_12_GLOBAL__N_121bessel_j0_kernel_cudaERNS_18TensorIteratorBaseEENKUlvE_clEvENKUlvE0_clEvEUlfE_EEvS5_RKT_EUlibE_EEviT1_
; %bb.0:
	v_mov_b32_e32 v1, 0
	global_load_ushort v10, v1, s[4:5] offset:33
	s_load_dwordx4 s[8:11], s[4:5], 0x8
	s_load_dwordx2 s[12:13], s[4:5], 0x18
	s_load_dword s33, s[4:5], 0x0
	v_lshl_or_b32 v9, s6, 9, v0
	v_or_b32_e32 v7, 0x180, v9
	s_mov_b64 s[14:15], 0
	s_mov_b64 s[16:17], 0
	s_waitcnt lgkmcnt(0)
	v_cmp_le_i32_e32 vcc, s33, v7
	s_waitcnt vmcnt(0)
	v_lshrrev_b16_e32 v8, 8, v10
	s_and_saveexec_b64 s[0:1], vcc
	s_xor_b64 s[6:7], exec, s[0:1]
	s_cbranch_execz .LBB20_1090
; %bb.1:
	v_cmp_gt_i32_e32 vcc, s33, v9
	s_mov_b64 s[2:3], -1
	s_mov_b64 s[24:25], 0
	s_mov_b64 s[18:19], 0
	s_and_saveexec_b64 s[20:21], vcc
	s_cbranch_execz .LBB20_267
; %bb.2:
	v_mul_lo_u32 v0, v9, s13
	v_ashrrev_i32_e32 v1, 31, v0
	v_mov_b32_e32 v2, s11
	v_add_co_u32_e32 v0, vcc, s10, v0
	v_addc_co_u32_e32 v1, vcc, v2, v1, vcc
	v_cmp_gt_i16_e32 vcc, 11, v8
	s_cbranch_vccnz .LBB20_9
; %bb.3:
	v_cmp_lt_i16_e32 vcc, 25, v8
	s_cbranch_vccz .LBB20_20
; %bb.4:
	v_cmp_lt_i16_e32 vcc, 28, v8
	s_cbranch_vccz .LBB20_38
	;; [unrolled: 3-line block ×4, first 2 shown]
; %bb.7:
	v_cmp_eq_u16_e32 vcc, 46, v8
	s_mov_b64 s[2:3], 0
	s_cbranch_vccz .LBB20_43
; %bb.8:
	global_load_dword v2, v[0:1], off
	s_mov_b64 s[0:1], -1
	s_waitcnt vmcnt(0)
	v_lshlrev_b32_e32 v2, 16, v2
	s_branch .LBB20_45
.LBB20_9:
                                        ; implicit-def: $vgpr2
	s_mov_b64 s[0:1], 0
	s_and_b64 vcc, exec, s[2:3]
	s_cbranch_vccnz .LBB20_218
.LBB20_10:
	s_andn2_b64 vcc, exec, s[0:1]
	s_cbranch_vccnz .LBB20_265
.LBB20_11:
	s_waitcnt vmcnt(0)
	v_cmp_gt_f32_e32 vcc, 0, v2
	v_cndmask_b32_e64 v1, v2, -v2, vcc
	s_mov_b32 s0, 0x40a00000
	v_cmp_ge_f32_e32 vcc, s0, v1
	v_mul_f32_e32 v2, v1, v1
                                        ; implicit-def: $vgpr0
	s_and_saveexec_b64 s[0:1], vcc
	s_xor_b64 s[0:1], exec, s[0:1]
	s_cbranch_execz .LBB20_17
; %bb.12:
	s_mov_b32 s2, 0x3727c5ac
	v_cmp_ngt_f32_e32 vcc, s2, v1
                                        ; implicit-def: $vgpr0
	s_and_saveexec_b64 s[2:3], vcc
	s_xor_b64 s[2:3], exec, s[2:3]
	s_cbranch_execz .LBB20_14
; %bb.13:
	v_mov_b32_e32 v1, 0x43f9c815
	v_fmac_f32_e32 v1, 0, v2
	v_mov_b32_e32 v3, 0x4829b65a
	v_fmac_f32_e32 v3, v2, v1
	;; [unrolled: 2-line block ×4, first 2 shown]
	s_mov_b32 s4, 0xcf8ee29d
	v_mul_f32_e32 v0, 0, v2
	v_mul_f32_e32 v1, v2, v3
	s_mov_b32 s5, 0x53f5f59c
	v_pk_add_f32 v[0:1], v[0:1], s[4:5]
	s_mov_b32 s4, 0x53e3ba8e
	s_mov_b32 s5, 0x578d3514
	v_pk_fma_f32 v[0:1], v[2:3], v[0:1], s[4:5] op_sel_hi:[0,1,1]
	s_mov_b32 s4, 0xd762b0a7
	s_mov_b32 s5, 0x5ae20a0c
	v_pk_fma_f32 v[0:1], v[2:3], v[0:1], s[4:5] op_sel_hi:[0,1,1]
	;; [unrolled: 3-line block ×3, first 2 shown]
	s_mov_b32 s4, 0xc0b90fdc
	s_mov_b32 s5, 0xc1f3c525
	v_pk_add_f32 v[2:3], v[2:3], s[4:5] op_sel_hi:[0,1]
	v_mul_f32_e32 v2, v2, v3
	v_mul_f32_e32 v0, v2, v0
	v_div_scale_f32 v2, s[4:5], v1, v1, v0
	v_rcp_f32_e32 v3, v2
	v_fma_f32 v4, -v2, v3, 1.0
	v_fmac_f32_e32 v3, v4, v3
	v_div_scale_f32 v4, vcc, v0, v1, v0
	v_mul_f32_e32 v5, v4, v3
	v_fma_f32 v6, -v2, v5, v4
	v_fmac_f32_e32 v5, v6, v3
	v_fma_f32 v2, -v2, v5, v4
	v_div_fmas_f32 v2, v2, v3, v5
	v_div_fixup_f32 v0, v2, v1, v0
                                        ; implicit-def: $vgpr2
.LBB20_14:
	s_andn2_saveexec_b64 s[2:3], s[2:3]
; %bb.15:
	s_mov_b32 s4, 0xbe800000
	v_fma_f32 v0, v2, s4, 1.0
; %bb.16:
	s_or_b64 exec, exec, s[2:3]
                                        ; implicit-def: $vgpr2
                                        ; implicit-def: $vgpr1
.LBB20_17:
	s_andn2_saveexec_b64 s[16:17], s[0:1]
	s_cbranch_execz .LBB20_28
; %bb.18:
	v_add_f32_e32 v0, 0xbf490fdb, v1
	v_and_b32_e32 v3, 0x7fffffff, v0
	s_brev_b32 s0, 18
	v_cmp_nlt_f32_e64 s[22:23], |v0|, s0
	v_lshrrev_b32_e32 v11, 23, v3
                                        ; implicit-def: $vgpr4
                                        ; implicit-def: $vgpr5
	s_and_saveexec_b64 s[0:1], s[22:23]
	s_xor_b64 s[26:27], exec, s[0:1]
	s_cbranch_execz .LBB20_21
; %bb.19:
	v_add_u32_e32 v4, 0xffffff88, v11
	v_not_b32_e32 v6, 63
	v_cmp_lt_u32_e32 vcc, 63, v4
	v_cndmask_b32_e32 v6, 0, v6, vcc
	v_add_u32_e32 v4, v6, v4
	v_not_b32_e32 v6, 31
	v_cmp_lt_u32_e64 s[0:1], 31, v4
	v_cndmask_b32_e64 v7, 0, v6, s[0:1]
	v_add_u32_e32 v4, v7, v4
	v_cmp_lt_u32_e64 s[2:3], 31, v4
	v_cndmask_b32_e64 v6, 0, v6, s[2:3]
	v_add_u32_e32 v22, v6, v4
	v_and_b32_e32 v4, 0x7fffff, v3
	v_or_b32_e32 v23, 0x800000, v4
	s_mov_b32 s4, 0xfe5163ab
	v_mad_u64_u32 v[6:7], s[4:5], v23, s4, 0
	v_mov_b32_e32 v5, 0
	v_mov_b32_e32 v4, v7
	s_mov_b32 s4, 0x3c439041
	v_mad_u64_u32 v[12:13], s[4:5], v23, s4, v[4:5]
	v_mov_b32_e32 v4, v13
	s_mov_b32 s4, 0xdb629599
	v_mad_u64_u32 v[14:15], s[4:5], v23, s4, v[4:5]
	;; [unrolled: 3-line block ×6, first 2 shown]
	v_cndmask_b32_e32 v7, v20, v16, vcc
	v_cndmask_b32_e32 v4, v4, v18, vcc
	;; [unrolled: 1-line block ×3, first 2 shown]
	v_cndmask_b32_e64 v13, v4, v7, s[0:1]
	v_cndmask_b32_e64 v4, v5, v4, s[0:1]
	v_cndmask_b32_e32 v5, v18, v14, vcc
	v_cndmask_b32_e64 v7, v7, v5, s[0:1]
	v_cndmask_b32_e32 v12, v16, v12, vcc
	v_cndmask_b32_e64 v4, v4, v13, s[2:3]
	v_cndmask_b32_e64 v13, v13, v7, s[2:3]
	v_sub_u32_e32 v15, 32, v22
	v_cndmask_b32_e64 v5, v5, v12, s[0:1]
	v_alignbit_b32 v17, v4, v13, v15
	v_cmp_eq_u32_e64 s[4:5], 0, v22
	v_cndmask_b32_e64 v7, v7, v5, s[2:3]
	v_cndmask_b32_e64 v4, v17, v4, s[4:5]
	v_alignbit_b32 v16, v13, v7, v15
	v_cndmask_b32_e64 v13, v16, v13, s[4:5]
	v_bfe_u32 v18, v4, 29, 1
	v_cndmask_b32_e32 v6, v14, v6, vcc
	v_alignbit_b32 v16, v4, v13, 30
	v_sub_u32_e32 v19, 0, v18
	v_cndmask_b32_e64 v6, v12, v6, s[0:1]
	v_xor_b32_e32 v20, v16, v19
	v_cndmask_b32_e64 v5, v5, v6, s[2:3]
	v_alignbit_b32 v6, v7, v5, v15
	v_ffbh_u32_e32 v12, v20
	v_cndmask_b32_e64 v6, v6, v7, s[4:5]
	v_add_u32_e32 v12, 1, v12
	v_cmp_ne_u32_e32 vcc, v16, v19
	v_alignbit_b32 v7, v13, v6, 30
	v_cndmask_b32_e32 v12, 33, v12, vcc
	v_alignbit_b32 v5, v6, v5, 30
	v_xor_b32_e32 v7, v7, v19
	v_sub_u32_e32 v13, 32, v12
	v_xor_b32_e32 v5, v5, v19
	v_alignbit_b32 v14, v20, v7, v13
	v_alignbit_b32 v5, v7, v5, v13
	;; [unrolled: 1-line block ×3, first 2 shown]
	v_ffbh_u32_e32 v7, v6
	v_min_u32_e32 v7, 32, v7
	v_lshrrev_b32_e32 v17, 29, v4
	v_sub_u32_e32 v13, 31, v7
	v_alignbit_b32 v5, v6, v5, v13
	v_lshlrev_b32_e32 v6, 31, v17
	v_or_b32_e32 v13, 0x33800000, v6
	v_add_lshl_u32 v7, v7, v12, 23
	v_lshrrev_b32_e32 v5, 9, v5
	v_sub_u32_e32 v7, v13, v7
	v_or_b32_e32 v5, v7, v5
	v_alignbit_b32 v7, v12, v14, 9
	v_or_b32_e32 v6, v7, v6
	v_xor_b32_e32 v6, 1.0, v6
	s_mov_b32 s0, 0x3fc90fda
	v_mul_f32_e32 v7, 0x3fc90fda, v6
	v_fma_f32 v12, v6, s0, -v7
	v_fmac_f32_e32 v12, 0x33a22168, v6
	v_fmac_f32_e32 v12, 0x3fc90fda, v5
	v_lshrrev_b32_e32 v4, 30, v4
	v_add_f32_e32 v5, v7, v12
	v_add_u32_e32 v4, v18, v4
	s_andn2_saveexec_b64 s[0:1], s[26:27]
	s_branch .LBB20_22
.LBB20_20:
	s_mov_b64 s[0:1], 0
                                        ; implicit-def: $vgpr2
	s_and_b64 vcc, exec, s[2:3]
	s_cbranch_vccnz .LBB20_183
	s_branch .LBB20_217
.LBB20_21:
	s_andn2_saveexec_b64 s[0:1], s[26:27]
.LBB20_22:
	s_mov_b32 s2, 0x3f22f983
	v_mul_f32_e64 v4, |v0|, s2
	v_rndne_f32_e32 v6, v4
	s_mov_b32 s2, 0xbfc90fda
	v_cvt_i32_f32_e32 v4, v6
	v_fma_f32 v5, v6, s2, |v0|
	v_fmac_f32_e32 v5, 0xb3a22168, v6
	v_fmac_f32_e32 v5, 0xa7c234c4, v6
; %bb.23:
	s_or_b64 exec, exec, s[0:1]
                                        ; implicit-def: $vgpr6
                                        ; implicit-def: $vgpr7
	s_and_saveexec_b64 s[0:1], s[22:23]
	s_xor_b64 s[22:23], exec, s[0:1]
	s_cbranch_execz .LBB20_25
; %bb.24:
	v_add_u32_e32 v6, 0xffffff88, v11
	v_not_b32_e32 v11, 63
	v_cmp_lt_u32_e32 vcc, 63, v6
	v_cndmask_b32_e32 v11, 0, v11, vcc
	v_add_u32_e32 v6, v11, v6
	v_not_b32_e32 v11, 31
	v_cmp_lt_u32_e64 s[0:1], 31, v6
	v_cndmask_b32_e64 v12, 0, v11, s[0:1]
	v_add_u32_e32 v6, v12, v6
	v_cmp_lt_u32_e64 s[2:3], 31, v6
	v_cndmask_b32_e64 v11, 0, v11, s[2:3]
	v_add_u32_e32 v11, v11, v6
	v_and_b32_e32 v6, 0x7fffff, v3
	v_or_b32_e32 v24, 0x800000, v6
	s_mov_b32 s4, 0xfe5163ab
	v_mad_u64_u32 v[12:13], s[4:5], v24, s4, 0
	v_mov_b32_e32 v7, 0
	v_mov_b32_e32 v6, v13
	s_mov_b32 s4, 0x3c439041
	v_mad_u64_u32 v[14:15], s[4:5], v24, s4, v[6:7]
	v_mov_b32_e32 v6, v15
	s_mov_b32 s4, 0xdb629599
	v_mad_u64_u32 v[16:17], s[4:5], v24, s4, v[6:7]
	;; [unrolled: 3-line block ×6, first 2 shown]
	v_cndmask_b32_e32 v13, v22, v18, vcc
	v_cndmask_b32_e32 v6, v6, v20, vcc
	;; [unrolled: 1-line block ×3, first 2 shown]
	v_cndmask_b32_e64 v15, v6, v13, s[0:1]
	v_cndmask_b32_e64 v6, v7, v6, s[0:1]
	v_cndmask_b32_e32 v7, v20, v16, vcc
	v_cndmask_b32_e64 v13, v13, v7, s[0:1]
	v_sub_u32_e32 v17, 32, v11
	v_cmp_eq_u32_e64 s[4:5], 0, v11
	v_cndmask_b32_e32 v11, v18, v14, vcc
	v_cndmask_b32_e64 v6, v6, v15, s[2:3]
	v_cndmask_b32_e64 v15, v15, v13, s[2:3]
	;; [unrolled: 1-line block ×3, first 2 shown]
	v_alignbit_b32 v19, v6, v15, v17
	v_cndmask_b32_e64 v13, v13, v7, s[2:3]
	v_cndmask_b32_e64 v6, v19, v6, s[4:5]
	v_alignbit_b32 v14, v15, v13, v17
	v_cndmask_b32_e32 v12, v16, v12, vcc
	v_cndmask_b32_e64 v14, v14, v15, s[4:5]
	v_bfe_u32 v19, v6, 29, 1
	v_cndmask_b32_e64 v11, v11, v12, s[0:1]
	v_alignbit_b32 v15, v6, v14, 30
	v_sub_u32_e32 v20, 0, v19
	v_cndmask_b32_e64 v7, v7, v11, s[2:3]
	v_xor_b32_e32 v21, v15, v20
	v_alignbit_b32 v11, v13, v7, v17
	v_cndmask_b32_e64 v11, v11, v13, s[4:5]
	v_ffbh_u32_e32 v13, v21
	v_add_u32_e32 v13, 1, v13
	v_cmp_ne_u32_e32 vcc, v15, v20
	v_alignbit_b32 v12, v14, v11, 30
	v_cndmask_b32_e32 v13, 33, v13, vcc
	v_alignbit_b32 v7, v11, v7, 30
	v_xor_b32_e32 v12, v12, v20
	v_sub_u32_e32 v14, 32, v13
	v_xor_b32_e32 v7, v7, v20
	v_alignbit_b32 v15, v21, v12, v14
	v_alignbit_b32 v7, v12, v7, v14
	;; [unrolled: 1-line block ×3, first 2 shown]
	v_ffbh_u32_e32 v12, v11
	v_min_u32_e32 v12, 32, v12
	v_lshrrev_b32_e32 v18, 29, v6
	v_sub_u32_e32 v14, 31, v12
	v_alignbit_b32 v7, v11, v7, v14
	v_lshlrev_b32_e32 v11, 31, v18
	v_or_b32_e32 v14, 0x33800000, v11
	v_add_lshl_u32 v12, v12, v13, 23
	v_lshrrev_b32_e32 v7, 9, v7
	v_sub_u32_e32 v12, v14, v12
	v_or_b32_e32 v7, v12, v7
	v_alignbit_b32 v12, v13, v15, 9
	v_or_b32_e32 v11, v12, v11
	v_xor_b32_e32 v11, 1.0, v11
	s_mov_b32 s0, 0x3fc90fda
	v_mul_f32_e32 v12, 0x3fc90fda, v11
	v_fma_f32 v13, v11, s0, -v12
	v_fmac_f32_e32 v13, 0x33a22168, v11
	v_fmac_f32_e32 v13, 0x3fc90fda, v7
	v_lshrrev_b32_e32 v6, 30, v6
	v_add_f32_e32 v7, v12, v13
	v_add_u32_e32 v6, v19, v6
	s_andn2_saveexec_b64 s[0:1], s[22:23]
	s_cbranch_execnz .LBB20_26
	s_branch .LBB20_27
.LBB20_25:
	s_andn2_saveexec_b64 s[0:1], s[22:23]
.LBB20_26:
	s_mov_b32 s2, 0x3f22f983
	v_mul_f32_e64 v6, |v0|, s2
	v_rndne_f32_e32 v11, v6
	s_mov_b32 s2, 0xbfc90fda
	v_cvt_i32_f32_e32 v6, v11
	v_fma_f32 v7, v11, s2, |v0|
	v_fmac_f32_e32 v7, 0xb3a22168, v11
	v_fmac_f32_e32 v7, 0xa7c234c4, v11
.LBB20_27:
	s_or_b64 exec, exec, s[0:1]
	s_mov_b32 s2, 0x41c80000
	v_div_scale_f32 v11, s[0:1], v2, v2, s2
	v_rcp_f32_e32 v12, v11
	v_div_scale_f32 v13, vcc, s2, v2, s2
	v_mov_b32_e32 v19, 0xbf000004
	v_fma_f32 v14, -v11, v12, 1.0
	v_fmac_f32_e32 v12, v14, v12
	v_mul_f32_e32 v14, v13, v12
	v_fma_f32 v15, -v11, v14, v13
	v_fmac_f32_e32 v14, v15, v12
	v_fma_f32 v11, -v11, v14, v13
	v_div_fmas_f32 v11, v11, v12, v14
	v_div_fixup_f32 v2, v11, v2, s2
	v_mov_b32_e32 v11, 0x3a50e985
	v_fmac_f32_e32 v11, 0, v2
	v_mov_b32_e32 v12, 0x3da9a586
	v_fmac_f32_e32 v12, v2, v11
	;; [unrolled: 2-line block ×12, first 2 shown]
	v_fma_f32 v11, v2, v13, 1.0
	v_mov_b32_e32 v13, 0xbc3a3a12
	v_fmac_f32_e32 v13, 0, v2
	v_mov_b32_e32 v14, 0xbfa429da
	v_fmac_f32_e32 v14, v2, v13
	;; [unrolled: 2-line block ×9, first 2 shown]
	v_mov_b32_e32 v15, 0x44561b86
	v_fma_f32 v12, v2, v12, 1.0
	v_fmac_f32_e32 v15, v2, v13
	v_mov_b32_e32 v13, 0x4572a66e
	v_div_scale_f32 v16, s[0:1], v11, v11, v12
	v_fmac_f32_e32 v13, v2, v15
	v_mov_b32_e32 v15, 0x45e243be
	v_rcp_f32_e32 v17, v16
	v_fmac_f32_e32 v15, v2, v13
	v_mov_b32_e32 v13, 0x45b955d1
	v_fmac_f32_e32 v13, v2, v15
	v_mov_b32_e32 v15, 0x4500e17e
	;; [unrolled: 2-line block ×3, first 2 shown]
	v_fmac_f32_e32 v13, v2, v15
	v_fma_f32 v2, -v16, v17, 1.0
	v_fmac_f32_e32 v17, v2, v17
	v_div_scale_f32 v2, vcc, v12, v11, v12
	v_mul_f32_e32 v15, v2, v17
	v_fma_f32 v18, -v16, v15, v2
	v_fmac_f32_e32 v15, v18, v17
	v_fma_f32 v2, -v16, v15, v2
	v_div_fmas_f32 v2, v2, v17, v15
	v_div_fixup_f32 v2, v2, v11, v12
	v_mul_f32_e32 v11, v5, v5
	v_mov_b32_e32 v17, 0xbab64f3b
	v_mov_b32_e32 v15, 0x3c0881c4
	v_fmac_f32_e32 v17, 0x37d75334, v11
	v_mov_b32_e32 v18, 0x3d2aabf7
	v_fmac_f32_e32 v15, 0xb94c1982, v11
	v_mov_b32_e32 v16, 0xbe2aaa9d
	v_fma_f32 v17, v11, v17, v18
	v_fma_f32 v15, v11, v15, v16
	;; [unrolled: 1-line block ×3, first 2 shown]
	v_mul_f32_e32 v15, v11, v15
	v_fma_f32 v11, v11, v17, 1.0
	v_and_b32_e32 v17, 1, v4
	v_fmac_f32_e32 v5, v5, v15
	v_cmp_eq_u32_e32 vcc, 0, v17
	v_lshlrev_b32_e32 v4, 30, v4
	v_cndmask_b32_e64 v5, -v5, v11, vcc
	v_and_b32_e32 v4, 0x80000000, v4
	s_mov_b32 s4, 0xc0a00000
	v_xor_b32_e32 v4, v4, v5
	v_div_scale_f32 v5, s[0:1], v1, v1, s4
	v_rcp_f32_e32 v11, v5
	s_movk_i32 s2, 0x1f8
	v_cmp_class_f32_e64 s[0:1], v0, s2
	v_mov_b32_e32 v12, 0x3c0881c4
	v_fma_f32 v20, -v5, v11, 1.0
	v_fmac_f32_e32 v11, v20, v11
	v_div_scale_f32 v20, vcc, s4, v1, s4
	v_mul_f32_e32 v21, v20, v11
	v_fma_f32 v22, -v5, v21, v20
	v_fmac_f32_e32 v21, v22, v11
	v_fma_f32 v5, -v5, v21, v20
	v_div_scale_f32 v20, s[2:3], v13, v13, v14
	v_rcp_f32_e32 v22, v20
	v_div_fmas_f32 v5, v5, v11, v21
	v_div_fixup_f32 v5, v5, v1, s4
	v_mov_b32_e32 v15, 0xbab64f3b
	v_fma_f32 v11, -v20, v22, 1.0
	v_fmac_f32_e32 v22, v11, v22
	v_div_scale_f32 v11, vcc, v14, v13, v14
	v_mul_f32_e32 v21, v11, v22
	v_fma_f32 v23, -v20, v21, v11
	v_fmac_f32_e32 v21, v23, v22
	v_fma_f32 v11, -v20, v21, v11
	v_div_fmas_f32 v11, v11, v22, v21
	v_div_fixup_f32 v11, v11, v13, v14
	v_mul_f32_e32 v5, v5, v11
	v_mul_f32_e32 v11, v7, v7
	v_fmac_f32_e32 v12, 0xb94c1982, v11
	v_fmac_f32_e32 v16, v11, v12
	;; [unrolled: 1-line block ×3, first 2 shown]
	v_mul_f32_e32 v12, v11, v16
	v_fmac_f32_e32 v18, v11, v15
	v_fmac_f32_e32 v7, v7, v12
	;; [unrolled: 1-line block ×3, first 2 shown]
	v_and_b32_e32 v12, 1, v6
	v_lshlrev_b32_e32 v6, 30, v6
	v_fma_f32 v11, v11, v19, 1.0
	v_cmp_eq_u32_e32 vcc, 0, v12
	v_and_b32_e32 v6, 0x80000000, v6
	v_xor_b32_e32 v0, v3, v0
	v_cndmask_b32_e32 v7, v11, v7, vcc
	v_xor_b32_e32 v0, v0, v6
	v_mov_b32_e32 v17, 0x7fc00000
	v_xor_b32_e32 v0, v0, v7
	v_cndmask_b32_e64 v4, v17, v4, s[0:1]
	v_cndmask_b32_e64 v0, v17, v0, s[0:1]
	s_mov_b32 s0, 0xf800000
	v_mul_f32_e32 v3, 0x4f800000, v1
	v_cmp_gt_f32_e32 vcc, s0, v1
	v_cndmask_b32_e32 v1, v1, v3, vcc
	v_sqrt_f32_e32 v3, v1
	v_mul_f32_e32 v0, v5, v0
	v_fmac_f32_e32 v0, v2, v4
	v_mul_f32_e32 v0, 0x3f4c422a, v0
	v_add_u32_e32 v2, -1, v3
	v_fma_f32 v4, -v2, v3, v1
	v_cmp_ge_f32_e64 s[0:1], 0, v4
	v_add_u32_e32 v4, 1, v3
	v_cndmask_b32_e64 v2, v3, v2, s[0:1]
	v_fma_f32 v3, -v4, v3, v1
	v_cmp_lt_f32_e64 s[0:1], 0, v3
	v_cndmask_b32_e64 v2, v2, v4, s[0:1]
	v_mul_f32_e32 v3, 0x37800000, v2
	v_cndmask_b32_e32 v2, v2, v3, vcc
	v_mov_b32_e32 v3, 0x260
	v_cmp_class_f32_e32 vcc, v1, v3
	v_cndmask_b32_e32 v1, v2, v1, vcc
	v_div_scale_f32 v2, s[0:1], v1, v1, v0
	v_rcp_f32_e32 v3, v2
	v_fma_f32 v4, -v2, v3, 1.0
	v_fmac_f32_e32 v3, v4, v3
	v_div_scale_f32 v4, vcc, v0, v1, v0
	v_mul_f32_e32 v5, v4, v3
	v_fma_f32 v6, -v2, v5, v4
	v_fmac_f32_e32 v5, v6, v3
	v_fma_f32 v2, -v2, v5, v4
	v_div_fmas_f32 v2, v2, v3, v5
	v_div_fixup_f32 v0, v2, v1, v0
.LBB20_28:
	s_or_b64 exec, exec, s[16:17]
	v_mul_lo_u32 v1, v9, s12
	v_ashrrev_i32_e32 v3, 31, v1
	v_mov_b32_e32 v4, s9
	v_add_co_u32_e32 v2, vcc, s8, v1
	v_mov_b32_e32 v1, 11
	v_addc_co_u32_e32 v3, vcc, v4, v3, vcc
	v_cmp_lt_i16_sdwa s[0:1], v10, v1 src0_sel:BYTE_0 src1_sel:DWORD
	s_and_b64 vcc, exec, s[0:1]
	s_cbranch_vccnz .LBB20_35
; %bb.29:
	v_mov_b32_e32 v1, 25
	v_cmp_gt_i16_sdwa s[0:1], v10, v1 src0_sel:BYTE_0 src1_sel:DWORD
	s_and_b64 vcc, exec, s[0:1]
	s_cbranch_vccz .LBB20_39
; %bb.30:
	v_mov_b32_e32 v1, 28
	v_cmp_gt_i16_sdwa s[0:1], v10, v1 src0_sel:BYTE_0 src1_sel:DWORD
	s_and_b64 vcc, exec, s[0:1]
	s_cbranch_vccz .LBB20_41
	;; [unrolled: 5-line block ×4, first 2 shown]
; %bb.33:
	v_mov_b32_e32 v1, 46
	v_cmp_eq_u16_sdwa s[2:3], v10, v1 src0_sel:BYTE_0 src1_sel:DWORD
	s_mov_b64 s[4:5], 0
	s_mov_b64 s[0:1], -1
	s_and_b64 vcc, exec, s[2:3]
	s_mov_b64 s[2:3], 0
	s_cbranch_vccz .LBB20_49
; %bb.34:
	v_bfe_u32 v1, v0, 16, 1
	s_movk_i32 s0, 0x7fff
	v_add3_u32 v1, v0, v1, s0
	v_lshrrev_b32_e32 v1, 16, v1
	v_mov_b32_e32 v4, 0x7fc0
	v_cmp_o_f32_e32 vcc, v0, v0
	v_cndmask_b32_e32 v1, v4, v1, vcc
	global_store_dword v[2:3], v1, off
	s_mov_b64 s[2:3], -1
	s_mov_b64 s[0:1], 0
	s_branch .LBB20_49
.LBB20_35:
	s_mov_b64 s[0:1], 0
	s_mov_b64 s[2:3], 0
	s_cbranch_execnz .LBB20_118
.LBB20_36:
	s_andn2_b64 vcc, exec, s[2:3]
	s_cbranch_vccnz .LBB20_156
.LBB20_37:
	v_add_u32_e32 v9, 0x80, v9
	s_mov_b64 s[2:3], -1
	s_branch .LBB20_266
.LBB20_38:
	s_mov_b64 s[0:1], 0
                                        ; implicit-def: $vgpr2
	s_branch .LBB20_164
.LBB20_39:
	s_mov_b64 s[4:5], -1
	s_mov_b64 s[0:1], 0
	s_mov_b64 s[2:3], 0
	s_branch .LBB20_76
.LBB20_40:
	s_mov_b64 s[0:1], 0
                                        ; implicit-def: $vgpr2
	s_branch .LBB20_159
.LBB20_41:
	s_mov_b64 s[4:5], -1
	s_mov_b64 s[0:1], 0
	s_mov_b64 s[2:3], 0
	s_branch .LBB20_59
.LBB20_42:
	s_mov_b64 s[4:5], -1
	s_mov_b64 s[0:1], 0
	s_mov_b64 s[2:3], 0
	s_branch .LBB20_55
.LBB20_43:
	s_mov_b64 s[18:19], -1
.LBB20_44:
	s_mov_b64 s[0:1], 0
                                        ; implicit-def: $vgpr2
.LBB20_45:
	s_and_b64 vcc, exec, s[2:3]
	s_cbranch_vccz .LBB20_158
; %bb.46:
	v_cmp_eq_u16_e32 vcc, 44, v8
	s_cbranch_vccz .LBB20_157
; %bb.47:
	global_load_ubyte v2, v[0:1], off
	s_movk_i32 s2, 0xff
	v_mov_b32_e32 v3, 0x7f800001
	v_mov_b32_e32 v4, 0x400000
	s_mov_b64 s[0:1], -1
	s_mov_b64 s[18:19], 0
	s_waitcnt vmcnt(0)
	v_lshlrev_b32_e32 v5, 23, v2
	v_cmp_ne_u32_e32 vcc, s2, v2
	v_cndmask_b32_e32 v3, v3, v5, vcc
	v_cmp_ne_u32_e32 vcc, 0, v2
	v_cndmask_b32_e32 v2, v4, v3, vcc
	s_branch .LBB20_158
.LBB20_48:
	s_mov_b64 s[4:5], -1
	s_mov_b64 s[0:1], 0
	s_mov_b64 s[2:3], 0
.LBB20_49:
	s_and_b64 vcc, exec, s[4:5]
	s_cbranch_vccz .LBB20_54
; %bb.50:
	v_mov_b32_e32 v1, 44
	v_cmp_eq_u16_sdwa s[4:5], v10, v1 src0_sel:BYTE_0 src1_sel:DWORD
	s_mov_b64 s[0:1], -1
	s_and_b64 vcc, exec, s[4:5]
	s_cbranch_vccz .LBB20_54
; %bb.51:
	v_bfe_u32 v1, v0, 23, 8
	s_movk_i32 s0, 0xff
	v_cmp_ne_u32_e32 vcc, s0, v1
	v_mov_b32_e32 v4, 0xff
	s_and_saveexec_b64 s[2:3], vcc
; %bb.52:
	s_mov_b32 s0, 0x3fffff
	v_and_b32_e32 v5, 0x400000, v0
	v_and_or_b32 v1, v0, s0, v1
	v_cmp_ne_u32_e32 vcc, 0, v5
	v_cmp_ne_u32_e64 s[0:1], 0, v1
	s_and_b64 s[0:1], vcc, s[0:1]
	v_lshrrev_b32_e32 v4, 23, v0
	v_cndmask_b32_e64 v1, 0, 1, s[0:1]
	v_add_u32_e32 v4, v4, v1
; %bb.53:
	s_or_b64 exec, exec, s[2:3]
	s_mov_b64 s[2:3], -1
	s_mov_b64 s[0:1], 0
	global_store_byte v[2:3], v4, off
.LBB20_54:
	s_mov_b64 s[4:5], 0
.LBB20_55:
	s_and_b64 vcc, exec, s[4:5]
	s_cbranch_vccz .LBB20_58
; %bb.56:
	v_mov_b32_e32 v1, 29
	v_cmp_eq_u16_sdwa s[4:5], v10, v1 src0_sel:BYTE_0 src1_sel:DWORD
	s_mov_b64 s[0:1], -1
	s_and_b64 vcc, exec, s[4:5]
	s_cbranch_vccz .LBB20_58
; %bb.57:
	v_trunc_f32_e32 v1, v0
	v_mul_f32_e32 v4, 0x2f800000, v1
	v_floor_f32_e32 v4, v4
	v_fmac_f32_e32 v1, 0xcf800000, v4
	v_cvt_u32_f32_e32 v5, v4
	v_cvt_u32_f32_e32 v4, v1
	s_mov_b64 s[2:3], -1
	s_mov_b64 s[0:1], 0
	s_mov_b64 s[4:5], 0
	global_store_dwordx2 v[2:3], v[4:5], off
	s_branch .LBB20_59
.LBB20_58:
	s_mov_b64 s[4:5], 0
.LBB20_59:
	s_and_b64 vcc, exec, s[4:5]
	s_cbranch_vccz .LBB20_75
; %bb.60:
	v_mov_b32_e32 v1, 27
	v_cmp_lt_i16_sdwa s[4:5], v10, v1 src0_sel:BYTE_0 src1_sel:DWORD
	s_mov_b64 s[2:3], -1
	s_and_b64 vcc, exec, s[4:5]
	s_cbranch_vccnz .LBB20_66
; %bb.61:
	v_cmp_gt_i16_sdwa s[4:5], v10, v1 src0_sel:BYTE_0 src1_sel:DWORD
	v_cvt_u32_f32_e32 v1, v0
	s_and_b64 vcc, exec, s[4:5]
	s_cbranch_vccz .LBB20_63
; %bb.62:
	s_mov_b64 s[2:3], 0
	global_store_dword v[2:3], v1, off
.LBB20_63:
	s_andn2_b64 vcc, exec, s[2:3]
	s_cbranch_vccnz .LBB20_65
; %bb.64:
	global_store_short v[2:3], v1, off
.LBB20_65:
	s_mov_b64 s[2:3], 0
.LBB20_66:
	s_andn2_b64 vcc, exec, s[2:3]
	s_cbranch_vccnz .LBB20_74
; %bb.67:
	v_and_b32_e32 v1, 0x7fffffff, v0
	s_mov_b32 s2, 0x43800000
	v_cmp_gt_u32_e32 vcc, s2, v1
	v_mov_b32_e32 v4, 0x80
	s_and_saveexec_b64 s[2:3], vcc
	s_cbranch_execz .LBB20_73
; %bb.68:
	s_mov_b32 s4, 0x3bffffff
	v_cmp_lt_u32_e32 vcc, s4, v1
	s_mov_b64 s[4:5], 0
                                        ; implicit-def: $vgpr1
	s_and_saveexec_b64 s[16:17], vcc
	s_xor_b64 s[16:17], exec, s[16:17]
	s_cbranch_execz .LBB20_310
; %bb.69:
	v_bfe_u32 v1, v0, 20, 1
	s_mov_b32 s22, 0x487ffff
	v_add3_u32 v1, v0, v1, s22
	s_mov_b64 s[4:5], exec
	v_lshrrev_b32_e32 v1, 20, v1
	s_or_saveexec_b64 s[16:17], s[16:17]
                                        ; implicit-def: $sgpr22
	s_xor_b64 exec, exec, s[16:17]
	s_cbranch_execnz .LBB20_311
.LBB20_70:
	s_or_b64 exec, exec, s[16:17]
	v_mov_b32_e32 v4, s22
	s_and_saveexec_b64 s[16:17], s[4:5]
.LBB20_71:
	v_lshrrev_b32_e32 v4, 24, v0
	s_movk_i32 s4, 0x80
	v_and_or_b32 v4, v4, s4, v1
.LBB20_72:
	s_or_b64 exec, exec, s[16:17]
.LBB20_73:
	s_or_b64 exec, exec, s[2:3]
	global_store_byte v[2:3], v4, off
.LBB20_74:
	s_mov_b64 s[2:3], -1
.LBB20_75:
	s_mov_b64 s[4:5], 0
.LBB20_76:
	s_and_b64 vcc, exec, s[4:5]
	s_cbranch_vccz .LBB20_117
; %bb.77:
	v_mov_b32_e32 v1, 22
	v_cmp_gt_i16_sdwa s[16:17], v10, v1 src0_sel:BYTE_0 src1_sel:DWORD
	s_mov_b64 s[4:5], -1
	s_and_b64 vcc, exec, s[16:17]
	s_cbranch_vccz .LBB20_109
; %bb.78:
	v_mov_b32_e32 v1, 24
	v_cmp_lt_i16_sdwa s[4:5], v10, v1 src0_sel:BYTE_0 src1_sel:DWORD
	s_mov_b64 s[2:3], -1
	s_and_b64 vcc, exec, s[4:5]
	s_cbranch_vccnz .LBB20_98
; %bb.79:
	v_cmp_gt_i16_sdwa s[4:5], v10, v1 src0_sel:BYTE_0 src1_sel:DWORD
	s_and_b64 vcc, exec, s[4:5]
	s_cbranch_vccz .LBB20_87
; %bb.80:
	v_and_b32_e32 v1, 0x7fffffff, v0
	s_mov_b32 s2, 0x47800000
	v_cmp_gt_u32_e32 vcc, s2, v1
	v_mov_b32_e32 v4, 0x80
	s_and_saveexec_b64 s[2:3], vcc
	s_cbranch_execz .LBB20_86
; %bb.81:
	s_mov_b32 s4, 0x37ffffff
	v_cmp_lt_u32_e32 vcc, s4, v1
	s_mov_b64 s[4:5], 0
                                        ; implicit-def: $vgpr1
	s_and_saveexec_b64 s[16:17], vcc
	s_xor_b64 s[16:17], exec, s[16:17]
	s_cbranch_execz .LBB20_314
; %bb.82:
	v_bfe_u32 v1, v0, 21, 1
	s_mov_b32 s22, 0x88fffff
	v_add3_u32 v1, v0, v1, s22
	s_mov_b64 s[4:5], exec
	v_lshrrev_b32_e32 v1, 21, v1
	s_or_saveexec_b64 s[16:17], s[16:17]
                                        ; implicit-def: $sgpr22
	s_xor_b64 exec, exec, s[16:17]
	s_cbranch_execnz .LBB20_315
.LBB20_83:
	s_or_b64 exec, exec, s[16:17]
	v_mov_b32_e32 v4, s22
	s_and_saveexec_b64 s[16:17], s[4:5]
.LBB20_84:
	v_lshrrev_b32_e32 v4, 24, v0
	s_movk_i32 s4, 0x80
	v_and_or_b32 v4, v4, s4, v1
.LBB20_85:
	s_or_b64 exec, exec, s[16:17]
.LBB20_86:
	s_or_b64 exec, exec, s[2:3]
	s_mov_b64 s[2:3], 0
	global_store_byte v[2:3], v4, off
.LBB20_87:
	s_and_b64 vcc, exec, s[2:3]
	s_cbranch_vccz .LBB20_97
; %bb.88:
	v_and_b32_e32 v4, 0x7fffffff, v0
	s_mov_b32 s2, 0x43f00000
	v_cmp_gt_u32_e32 vcc, s2, v4
                                        ; implicit-def: $vgpr1
	s_and_saveexec_b64 s[2:3], vcc
	s_xor_b64 s[2:3], exec, s[2:3]
	s_cbranch_execz .LBB20_94
; %bb.89:
	s_mov_b32 s4, 0x3c7fffff
	v_cmp_lt_u32_e32 vcc, s4, v4
                                        ; implicit-def: $vgpr1
	s_and_saveexec_b64 s[4:5], vcc
	s_xor_b64 s[4:5], exec, s[4:5]
; %bb.90:
	v_bfe_u32 v1, v0, 20, 1
	s_mov_b32 s16, 0x407ffff
	v_add3_u32 v1, v0, v1, s16
	v_lshrrev_b32_e32 v4, 20, v1
	v_and_b32_e32 v1, 0xff00000, v1
	s_mov_b32 s16, 0x7f00000
	v_mov_b32_e32 v5, 0x7e
	v_cmp_ne_u32_e32 vcc, s16, v1
	v_cndmask_b32_e32 v1, v5, v4, vcc
; %bb.91:
	s_andn2_saveexec_b64 s[4:5], s[4:5]
; %bb.92:
	s_mov_b32 s16, 0x46800000
	v_add_f32_e64 v1, |v0|, s16
; %bb.93:
	s_or_b64 exec, exec, s[4:5]
                                        ; implicit-def: $vgpr4
.LBB20_94:
	s_andn2_saveexec_b64 s[2:3], s[2:3]
; %bb.95:
	s_mov_b32 s4, 0x7f800000
	v_mov_b32_e32 v1, 0x7e
	v_mov_b32_e32 v5, 0x7f
	v_cmp_lt_u32_e32 vcc, s4, v4
	v_cndmask_b32_e32 v1, v1, v5, vcc
; %bb.96:
	s_or_b64 exec, exec, s[2:3]
	v_lshrrev_b32_e32 v4, 24, v0
	s_movk_i32 s2, 0x80
	v_and_or_b32 v1, v4, s2, v1
	global_store_byte v[2:3], v1, off
.LBB20_97:
	s_mov_b64 s[2:3], 0
.LBB20_98:
	s_andn2_b64 vcc, exec, s[2:3]
	s_cbranch_vccnz .LBB20_108
; %bb.99:
	v_and_b32_e32 v4, 0x7fffffff, v0
	s_mov_b32 s2, 0x47800000
	v_cmp_gt_u32_e32 vcc, s2, v4
                                        ; implicit-def: $vgpr1
	s_and_saveexec_b64 s[2:3], vcc
	s_xor_b64 s[2:3], exec, s[2:3]
	s_cbranch_execz .LBB20_105
; %bb.100:
	s_mov_b32 s4, 0x387fffff
	v_cmp_lt_u32_e32 vcc, s4, v4
                                        ; implicit-def: $vgpr1
	s_and_saveexec_b64 s[4:5], vcc
	s_xor_b64 s[4:5], exec, s[4:5]
; %bb.101:
	v_bfe_u32 v1, v0, 21, 1
	s_mov_b32 s16, 0x80fffff
	v_add3_u32 v1, v0, v1, s16
	v_lshrrev_b32_e32 v1, 21, v1
; %bb.102:
	s_andn2_saveexec_b64 s[4:5], s[4:5]
; %bb.103:
	s_mov_b32 s16, 0x43000000
	v_add_f32_e64 v1, |v0|, s16
; %bb.104:
	s_or_b64 exec, exec, s[4:5]
                                        ; implicit-def: $vgpr4
.LBB20_105:
	s_andn2_saveexec_b64 s[2:3], s[2:3]
; %bb.106:
	s_mov_b32 s4, 0x7f800000
	v_mov_b32_e32 v1, 0x7c
	v_mov_b32_e32 v5, 0x7f
	v_cmp_lt_u32_e32 vcc, s4, v4
	v_cndmask_b32_e32 v1, v1, v5, vcc
; %bb.107:
	s_or_b64 exec, exec, s[2:3]
	v_lshrrev_b32_e32 v4, 24, v0
	s_movk_i32 s2, 0x80
	v_and_or_b32 v1, v4, s2, v1
	global_store_byte v[2:3], v1, off
.LBB20_108:
	s_mov_b64 s[4:5], 0
	s_mov_b64 s[2:3], -1
.LBB20_109:
	s_andn2_b64 vcc, exec, s[4:5]
	s_cbranch_vccnz .LBB20_117
; %bb.110:
	v_mov_b32_e32 v1, 14
	v_cmp_gt_i16_sdwa s[16:17], v10, v1 src0_sel:BYTE_0 src1_sel:DWORD
	s_mov_b64 s[4:5], -1
	s_and_b64 vcc, exec, s[16:17]
	s_cbranch_vccz .LBB20_114
; %bb.111:
	v_mov_b32_e32 v1, 15
	v_cmp_eq_u16_sdwa s[4:5], v10, v1 src0_sel:BYTE_0 src1_sel:DWORD
	s_mov_b64 s[0:1], -1
	s_and_b64 vcc, exec, s[4:5]
	s_cbranch_vccz .LBB20_113
; %bb.112:
	v_bfe_u32 v1, v0, 16, 1
	s_movk_i32 s0, 0x7fff
	v_add3_u32 v1, v0, v1, s0
	v_lshrrev_b32_e32 v1, 16, v1
	v_mov_b32_e32 v4, 0x7fc0
	v_cmp_o_f32_e32 vcc, v0, v0
	v_cndmask_b32_e32 v1, v4, v1, vcc
	global_store_short v[2:3], v1, off
	s_mov_b64 s[2:3], -1
	s_mov_b64 s[0:1], 0
.LBB20_113:
	s_mov_b64 s[4:5], 0
.LBB20_114:
	s_and_b64 vcc, exec, s[4:5]
	s_cbranch_vccz .LBB20_117
; %bb.115:
	v_mov_b32_e32 v1, 11
	v_cmp_eq_u16_sdwa s[4:5], v10, v1 src0_sel:BYTE_0 src1_sel:DWORD
	s_mov_b64 s[0:1], -1
	s_and_b64 vcc, exec, s[4:5]
	s_cbranch_vccz .LBB20_117
; %bb.116:
	v_cmp_neq_f32_e32 vcc, 0, v0
	v_cndmask_b32_e64 v1, 0, 1, vcc
	s_mov_b64 s[2:3], -1
	s_mov_b64 s[0:1], 0
	global_store_byte v[2:3], v1, off
.LBB20_117:
	s_branch .LBB20_36
.LBB20_118:
	v_mov_b32_e32 v1, 5
	v_cmp_lt_i16_sdwa s[4:5], v10, v1 src0_sel:BYTE_0 src1_sel:DWORD
	s_mov_b64 s[2:3], -1
	s_and_b64 vcc, exec, s[4:5]
	s_cbranch_vccnz .LBB20_139
; %bb.119:
	v_mov_b32_e32 v1, 8
	v_cmp_lt_i16_sdwa s[4:5], v10, v1 src0_sel:BYTE_0 src1_sel:DWORD
	s_and_b64 vcc, exec, s[4:5]
	s_cbranch_vccnz .LBB20_129
; %bb.120:
	v_mov_b32_e32 v1, 9
	v_cmp_lt_i16_sdwa s[4:5], v10, v1 src0_sel:BYTE_0 src1_sel:DWORD
	s_and_b64 vcc, exec, s[4:5]
	s_cbranch_vccnz .LBB20_126
; %bb.121:
	v_cmp_gt_i16_sdwa s[4:5], v10, v1 src0_sel:BYTE_0 src1_sel:DWORD
	s_and_b64 vcc, exec, s[4:5]
	s_cbranch_vccz .LBB20_123
; %bb.122:
	v_mov_b32_e32 v6, 0
	v_cvt_f64_f32_e32 v[4:5], v0
	v_mov_b32_e32 v7, v6
	global_store_dwordx4 v[2:3], v[4:7], off
	s_mov_b64 s[2:3], 0
.LBB20_123:
	s_andn2_b64 vcc, exec, s[2:3]
	s_cbranch_vccnz .LBB20_125
; %bb.124:
	v_mov_b32_e32 v1, 0
	global_store_dwordx2 v[2:3], v[0:1], off
.LBB20_125:
	s_mov_b64 s[2:3], 0
.LBB20_126:
	s_andn2_b64 vcc, exec, s[2:3]
	s_cbranch_vccnz .LBB20_128
; %bb.127:
	v_cvt_f16_f32_e32 v1, v0
	global_store_dword v[2:3], v1, off
.LBB20_128:
	s_mov_b64 s[2:3], 0
.LBB20_129:
	s_andn2_b64 vcc, exec, s[2:3]
	s_cbranch_vccnz .LBB20_138
; %bb.130:
	v_mov_b32_e32 v1, 6
	v_cmp_lt_i16_sdwa s[4:5], v10, v1 src0_sel:BYTE_0 src1_sel:DWORD
	s_mov_b64 s[2:3], -1
	s_and_b64 vcc, exec, s[4:5]
	s_cbranch_vccnz .LBB20_136
; %bb.131:
	v_cmp_gt_i16_sdwa s[4:5], v10, v1 src0_sel:BYTE_0 src1_sel:DWORD
	s_and_b64 vcc, exec, s[4:5]
	s_cbranch_vccz .LBB20_133
; %bb.132:
	v_cvt_f64_f32_e32 v[4:5], v0
	global_store_dwordx2 v[2:3], v[4:5], off
	s_mov_b64 s[2:3], 0
.LBB20_133:
	s_andn2_b64 vcc, exec, s[2:3]
	s_cbranch_vccnz .LBB20_135
; %bb.134:
	global_store_dword v[2:3], v0, off
.LBB20_135:
	s_mov_b64 s[2:3], 0
.LBB20_136:
	s_andn2_b64 vcc, exec, s[2:3]
	s_cbranch_vccnz .LBB20_138
; %bb.137:
	v_cvt_f16_f32_e32 v1, v0
	global_store_short v[2:3], v1, off
.LBB20_138:
	s_mov_b64 s[2:3], 0
.LBB20_139:
	s_andn2_b64 vcc, exec, s[2:3]
	s_cbranch_vccnz .LBB20_155
; %bb.140:
	v_mov_b32_e32 v1, 2
	v_cmp_lt_i16_sdwa s[4:5], v10, v1 src0_sel:BYTE_0 src1_sel:DWORD
	s_mov_b64 s[2:3], -1
	s_and_b64 vcc, exec, s[4:5]
	s_cbranch_vccnz .LBB20_150
; %bb.141:
	v_mov_b32_e32 v1, 3
	v_cmp_lt_i16_sdwa s[4:5], v10, v1 src0_sel:BYTE_0 src1_sel:DWORD
	s_and_b64 vcc, exec, s[4:5]
	s_cbranch_vccnz .LBB20_147
; %bb.142:
	v_cmp_gt_i16_sdwa s[4:5], v10, v1 src0_sel:BYTE_0 src1_sel:DWORD
	s_and_b64 vcc, exec, s[4:5]
	s_cbranch_vccz .LBB20_144
; %bb.143:
	v_trunc_f32_e32 v1, v0
	s_mov_b32 s2, 0x2f800000
	v_mul_f32_e64 v4, |v1|, s2
	v_floor_f32_e32 v4, v4
	s_mov_b32 s2, 0xcf800000
	v_cvt_u32_f32_e32 v5, v4
	v_fma_f32 v4, v4, s2, |v1|
	v_cvt_u32_f32_e32 v4, v4
	v_ashrrev_i32_e32 v1, 31, v1
	v_xor_b32_e32 v5, v5, v1
	s_mov_b64 s[2:3], 0
	v_xor_b32_e32 v4, v4, v1
	v_sub_co_u32_e32 v4, vcc, v4, v1
	v_subb_co_u32_e32 v5, vcc, v5, v1, vcc
	global_store_dwordx2 v[2:3], v[4:5], off
.LBB20_144:
	s_andn2_b64 vcc, exec, s[2:3]
	s_cbranch_vccnz .LBB20_146
; %bb.145:
	v_cvt_i32_f32_e32 v1, v0
	global_store_dword v[2:3], v1, off
.LBB20_146:
	s_mov_b64 s[2:3], 0
.LBB20_147:
	s_andn2_b64 vcc, exec, s[2:3]
	s_cbranch_vccnz .LBB20_149
; %bb.148:
	v_cvt_i32_f32_e32 v1, v0
	global_store_short v[2:3], v1, off
.LBB20_149:
	s_mov_b64 s[2:3], 0
.LBB20_150:
	s_andn2_b64 vcc, exec, s[2:3]
	s_cbranch_vccnz .LBB20_155
; %bb.151:
	v_mov_b32_e32 v1, 0
	v_cmp_gt_i16_sdwa s[4:5], v10, v1 src0_sel:BYTE_0 src1_sel:DWORD
	s_mov_b64 s[2:3], -1
	s_and_b64 vcc, exec, s[4:5]
	s_cbranch_vccz .LBB20_153
; %bb.152:
	v_cvt_i32_f32_e32 v1, v0
	s_mov_b64 s[2:3], 0
	global_store_byte v[2:3], v1, off
.LBB20_153:
	s_andn2_b64 vcc, exec, s[2:3]
	s_cbranch_vccnz .LBB20_155
; %bb.154:
	v_trunc_f32_e32 v0, v0
	s_mov_b32 s2, 0x2f800000
	v_mul_f32_e64 v1, |v0|, s2
	v_floor_f32_e32 v1, v1
	s_mov_b32 s2, 0xcf800000
	v_fma_f32 v1, v1, s2, |v0|
	v_cvt_u32_f32_e32 v1, v1
	v_ashrrev_i32_e32 v0, 31, v0
	v_xor_b32_e32 v1, v1, v0
	v_sub_u32_e32 v0, v1, v0
	global_store_byte v[2:3], v0, off
.LBB20_155:
	s_branch .LBB20_37
.LBB20_156:
	s_mov_b64 s[2:3], 0
                                        ; implicit-def: $vgpr9
	s_branch .LBB20_266
.LBB20_157:
	s_mov_b64 s[18:19], -1
                                        ; implicit-def: $vgpr2
.LBB20_158:
	s_mov_b64 s[2:3], 0
.LBB20_159:
	s_and_b64 vcc, exec, s[2:3]
	s_cbranch_vccz .LBB20_163
; %bb.160:
	v_cmp_eq_u16_e32 vcc, 29, v8
	s_cbranch_vccz .LBB20_162
; %bb.161:
	global_load_dwordx2 v[2:3], v[0:1], off
	s_mov_b64 s[0:1], -1
	s_mov_b64 s[18:19], 0
	s_mov_b64 s[2:3], 0
	s_waitcnt vmcnt(0)
	v_ffbh_u32_e32 v4, v3
	v_min_u32_e32 v4, 32, v4
	v_lshlrev_b64 v[2:3], v4, v[2:3]
	v_min_u32_e32 v2, 1, v2
	v_or_b32_e32 v2, v3, v2
	v_cvt_f32_u32_e32 v2, v2
	v_sub_u32_e32 v3, 32, v4
	v_ldexp_f32 v2, v2, v3
	s_branch .LBB20_164
.LBB20_162:
	s_mov_b64 s[18:19], -1
                                        ; implicit-def: $vgpr2
.LBB20_163:
	s_mov_b64 s[2:3], 0
.LBB20_164:
	s_and_b64 vcc, exec, s[2:3]
	s_cbranch_vccz .LBB20_182
; %bb.165:
	v_cmp_gt_i16_e32 vcc, 27, v8
	s_cbranch_vccnz .LBB20_168
; %bb.166:
	v_cmp_lt_i16_e32 vcc, 27, v8
	s_cbranch_vccz .LBB20_169
; %bb.167:
	global_load_dword v2, v[0:1], off
	s_mov_b64 s[0:1], 0
	s_waitcnt vmcnt(0)
	v_cvt_f32_u32_e32 v2, v2
	s_branch .LBB20_170
.LBB20_168:
	s_mov_b64 s[0:1], -1
                                        ; implicit-def: $vgpr2
	s_branch .LBB20_173
.LBB20_169:
	s_mov_b64 s[0:1], -1
                                        ; implicit-def: $vgpr2
.LBB20_170:
	s_andn2_b64 vcc, exec, s[0:1]
	s_cbranch_vccnz .LBB20_172
; %bb.171:
	global_load_ushort v2, v[0:1], off
	s_waitcnt vmcnt(0)
	v_cvt_f32_u32_e32 v2, v2
.LBB20_172:
	s_mov_b64 s[0:1], 0
.LBB20_173:
	s_andn2_b64 vcc, exec, s[0:1]
	s_cbranch_vccnz .LBB20_181
; %bb.174:
	global_load_ubyte v3, v[0:1], off
	s_movk_i32 s0, 0x7f
                                        ; implicit-def: $sgpr16
	s_waitcnt vmcnt(0)
	v_cmp_lt_i16_e32 vcc, s0, v3
	s_mov_b64 s[0:1], 0
	s_and_saveexec_b64 s[2:3], vcc
	s_xor_b64 s[2:3], exec, s[2:3]
	s_cbranch_execz .LBB20_194
; %bb.175:
	s_movk_i32 s0, 0x80
	v_cmp_eq_u16_e32 vcc, s0, v3
	s_mov_b64 s[0:1], -1
                                        ; implicit-def: $sgpr16
	s_and_saveexec_b64 s[4:5], vcc
; %bb.176:
	s_mov_b32 s16, 0x7f800001
	s_xor_b64 s[0:1], exec, -1
; %bb.177:
	s_or_b64 exec, exec, s[4:5]
	s_and_b64 s[0:1], s[0:1], exec
	s_or_saveexec_b64 s[2:3], s[2:3]
	v_mov_b32_e32 v2, s16
	s_xor_b64 exec, exec, s[2:3]
	s_cbranch_execnz .LBB20_195
.LBB20_178:
	s_or_b64 exec, exec, s[2:3]
	s_and_saveexec_b64 s[2:3], s[0:1]
	s_cbranch_execz .LBB20_180
.LBB20_179:
	v_lshlrev_b32_e32 v2, 24, v3
	v_and_b32_e32 v3, 0xffff, v3
	v_and_b32_e32 v4, 7, v3
	v_ffbh_u32_e32 v6, v4
	v_min_u32_e32 v6, 32, v6
	v_subrev_u32_e32 v7, 28, v6
	v_bfe_u32 v5, v3, 3, 4
	v_lshlrev_b32_e32 v3, v7, v3
	v_sub_u32_e32 v6, 29, v6
	v_and_b32_e32 v3, 7, v3
	v_cmp_eq_u32_e32 vcc, 0, v5
	v_cndmask_b32_e32 v5, v5, v6, vcc
	v_cndmask_b32_e32 v3, v4, v3, vcc
	v_mov_b32_e32 v4, 0x3b800000
	v_lshlrev_b32_e32 v3, 20, v3
	v_and_b32_e32 v2, 0x80000000, v2
	v_lshl_add_u32 v4, v5, 23, v4
	v_or3_b32 v2, v2, v4, v3
.LBB20_180:
	s_or_b64 exec, exec, s[2:3]
.LBB20_181:
	s_mov_b64 s[0:1], -1
.LBB20_182:
	s_branch .LBB20_217
.LBB20_183:
	v_cmp_lt_i16_e32 vcc, 22, v8
	s_cbranch_vccz .LBB20_193
; %bb.184:
	v_cmp_gt_i16_e32 vcc, 24, v8
	s_cbranch_vccnz .LBB20_196
; %bb.185:
	v_cmp_lt_i16_e32 vcc, 24, v8
	s_cbranch_vccz .LBB20_197
; %bb.186:
	global_load_ubyte v3, v[0:1], off
	s_movk_i32 s0, 0x7f
                                        ; implicit-def: $sgpr16
	s_waitcnt vmcnt(0)
	v_cmp_lt_i16_e32 vcc, s0, v3
	s_mov_b64 s[0:1], 0
	s_and_saveexec_b64 s[2:3], vcc
	s_xor_b64 s[2:3], exec, s[2:3]
	s_cbranch_execz .LBB20_209
; %bb.187:
	s_movk_i32 s0, 0x80
	v_cmp_eq_u16_e32 vcc, s0, v3
	s_mov_b64 s[0:1], -1
                                        ; implicit-def: $sgpr16
	s_and_saveexec_b64 s[4:5], vcc
; %bb.188:
	s_mov_b32 s16, 0x7f800001
	s_xor_b64 s[0:1], exec, -1
; %bb.189:
	s_or_b64 exec, exec, s[4:5]
	s_and_b64 s[0:1], s[0:1], exec
	s_or_saveexec_b64 s[2:3], s[2:3]
	v_mov_b32_e32 v2, s16
	s_xor_b64 exec, exec, s[2:3]
	s_cbranch_execnz .LBB20_210
.LBB20_190:
	s_or_b64 exec, exec, s[2:3]
	s_and_saveexec_b64 s[2:3], s[0:1]
	s_cbranch_execz .LBB20_192
.LBB20_191:
	v_lshlrev_b32_e32 v2, 24, v3
	v_and_b32_e32 v3, 0xffff, v3
	v_and_b32_e32 v4, 3, v3
	v_ffbh_u32_e32 v6, v4
	v_min_u32_e32 v6, 32, v6
	v_subrev_u32_e32 v7, 29, v6
	v_bfe_u32 v5, v3, 2, 5
	v_lshlrev_b32_e32 v3, v7, v3
	v_sub_u32_e32 v6, 30, v6
	v_and_b32_e32 v3, 3, v3
	v_cmp_eq_u32_e32 vcc, 0, v5
	v_cndmask_b32_e32 v5, v5, v6, vcc
	v_cndmask_b32_e32 v3, v4, v3, vcc
	v_mov_b32_e32 v4, 0x37800000
	v_lshlrev_b32_e32 v3, 21, v3
	v_and_b32_e32 v2, 0x80000000, v2
	v_lshl_add_u32 v4, v5, 23, v4
	v_or3_b32 v2, v2, v4, v3
.LBB20_192:
	s_or_b64 exec, exec, s[2:3]
	s_mov_b64 s[0:1], 0
	s_branch .LBB20_198
.LBB20_193:
	s_mov_b64 s[2:3], -1
                                        ; implicit-def: $vgpr2
	s_branch .LBB20_204
.LBB20_194:
	s_or_saveexec_b64 s[2:3], s[2:3]
	v_mov_b32_e32 v2, s16
	s_xor_b64 exec, exec, s[2:3]
	s_cbranch_execz .LBB20_178
.LBB20_195:
	v_cmp_ne_u16_e32 vcc, 0, v3
	s_andn2_b64 s[0:1], s[0:1], exec
	s_and_b64 s[4:5], vcc, exec
	v_mov_b32_e32 v2, 0
	s_or_b64 s[0:1], s[0:1], s[4:5]
	s_or_b64 exec, exec, s[2:3]
	s_and_saveexec_b64 s[2:3], s[0:1]
	s_cbranch_execnz .LBB20_179
	s_branch .LBB20_180
.LBB20_196:
	s_mov_b64 s[0:1], -1
                                        ; implicit-def: $vgpr2
	s_branch .LBB20_201
.LBB20_197:
	s_mov_b64 s[0:1], -1
                                        ; implicit-def: $vgpr2
.LBB20_198:
	s_and_b64 vcc, exec, s[0:1]
	s_cbranch_vccz .LBB20_200
; %bb.199:
	global_load_ubyte v2, v[0:1], off
	s_mov_b32 s0, 0x7f800000
	s_waitcnt vmcnt(0)
	v_lshlrev_b32_e32 v2, 24, v2
	v_and_b32_e32 v3, 0x7f000000, v2
	v_ffbh_u32_e32 v4, v3
	v_min_u32_e32 v4, 32, v4
	v_sub_u32_e64 v4, v4, 4 clamp
	v_lshlrev_b32_e32 v6, v4, v3
	v_lshlrev_b32_e32 v4, 23, v4
	v_lshrrev_b32_e32 v6, 4, v6
	v_add_u32_e32 v5, 0x1000000, v3
	v_sub_u32_e32 v4, v6, v4
	v_ashrrev_i32_e32 v5, 8, v5
	v_add_u32_e32 v4, 0x3c000000, v4
	v_and_or_b32 v4, v5, s0, v4
	v_cmp_ne_u32_e32 vcc, 0, v3
	v_cndmask_b32_e32 v3, 0, v4, vcc
	s_brev_b32 s0, 1
	v_and_or_b32 v2, v2, s0, v3
.LBB20_200:
	s_mov_b64 s[0:1], 0
.LBB20_201:
	s_andn2_b64 vcc, exec, s[0:1]
	s_cbranch_vccnz .LBB20_203
; %bb.202:
	global_load_ubyte v2, v[0:1], off
	s_movk_i32 s0, 0x7f00
	s_brev_b32 s1, 16
	s_waitcnt vmcnt(0)
	v_lshlrev_b16_e32 v3, 8, v2
	v_lshlrev_b32_e32 v2, 25, v2
	v_lshrrev_b32_e32 v4, 4, v2
	v_and_or_b32 v5, v3, s0, 0.5
	v_or_b32_e32 v4, 0x70000000, v4
	v_add_f32_e32 v5, -0.5, v5
	v_mul_f32_e32 v4, 0x7800000, v4
	v_cmp_gt_u32_e32 vcc, s1, v2
	v_bfe_i32 v3, v3, 0, 16
	v_cndmask_b32_e32 v2, v4, v5, vcc
	s_brev_b32 s0, 1
	v_and_or_b32 v2, v3, s0, v2
.LBB20_203:
	s_mov_b64 s[2:3], 0
	s_mov_b64 s[0:1], -1
.LBB20_204:
	s_andn2_b64 vcc, exec, s[2:3]
	s_cbranch_vccnz .LBB20_217
; %bb.205:
	v_cmp_lt_i16_e32 vcc, 14, v8
	s_cbranch_vccz .LBB20_208
; %bb.206:
	v_cmp_eq_u16_e32 vcc, 15, v8
	s_cbranch_vccz .LBB20_211
; %bb.207:
	global_load_ushort v2, v[0:1], off
	s_mov_b64 s[0:1], -1
	s_mov_b64 s[18:19], 0
	s_waitcnt vmcnt(0)
	v_lshlrev_b32_e32 v2, 16, v2
	s_branch .LBB20_212
.LBB20_208:
	s_mov_b64 s[2:3], -1
                                        ; implicit-def: $vgpr2
	s_branch .LBB20_213
.LBB20_209:
	s_or_saveexec_b64 s[2:3], s[2:3]
	v_mov_b32_e32 v2, s16
	s_xor_b64 exec, exec, s[2:3]
	s_cbranch_execz .LBB20_190
.LBB20_210:
	v_cmp_ne_u16_e32 vcc, 0, v3
	s_andn2_b64 s[0:1], s[0:1], exec
	s_and_b64 s[4:5], vcc, exec
	v_mov_b32_e32 v2, 0
	s_or_b64 s[0:1], s[0:1], s[4:5]
	s_or_b64 exec, exec, s[2:3]
	s_and_saveexec_b64 s[2:3], s[0:1]
	s_cbranch_execnz .LBB20_191
	s_branch .LBB20_192
.LBB20_211:
	s_mov_b64 s[18:19], -1
                                        ; implicit-def: $vgpr2
.LBB20_212:
	s_mov_b64 s[2:3], 0
.LBB20_213:
	s_and_b64 vcc, exec, s[2:3]
	s_cbranch_vccz .LBB20_217
; %bb.214:
	v_cmp_eq_u16_e32 vcc, 11, v8
	s_cbranch_vccz .LBB20_216
; %bb.215:
	global_load_ubyte v2, v[0:1], off
	s_mov_b64 s[0:1], -1
	s_mov_b64 s[18:19], 0
	s_waitcnt vmcnt(0)
	v_cmp_ne_u16_e32 vcc, 0, v2
	v_cndmask_b32_e64 v2, 0, 1.0, vcc
	s_branch .LBB20_217
.LBB20_216:
	s_mov_b64 s[18:19], -1
                                        ; implicit-def: $vgpr2
.LBB20_217:
	s_branch .LBB20_10
.LBB20_218:
	v_cmp_gt_i16_e32 vcc, 5, v8
	s_cbranch_vccnz .LBB20_223
; %bb.219:
	v_cmp_gt_i16_e32 vcc, 8, v8
	s_cbranch_vccnz .LBB20_224
; %bb.220:
	;; [unrolled: 3-line block ×3, first 2 shown]
	v_cmp_lt_i16_e32 vcc, 9, v8
	s_cbranch_vccz .LBB20_226
; %bb.222:
	global_load_dwordx2 v[2:3], v[0:1], off
	s_mov_b64 s[0:1], 0
	s_waitcnt vmcnt(0)
	v_cvt_f32_f64_e32 v2, v[2:3]
	s_branch .LBB20_227
.LBB20_223:
                                        ; implicit-def: $vgpr2
	s_branch .LBB20_245
.LBB20_224:
	s_mov_b64 s[0:1], -1
                                        ; implicit-def: $vgpr2
	s_branch .LBB20_233
.LBB20_225:
	s_mov_b64 s[0:1], -1
                                        ; implicit-def: $vgpr2
	s_branch .LBB20_230
.LBB20_226:
	s_mov_b64 s[0:1], -1
                                        ; implicit-def: $vgpr2
.LBB20_227:
	s_andn2_b64 vcc, exec, s[0:1]
	s_cbranch_vccnz .LBB20_229
; %bb.228:
	global_load_dword v2, v[0:1], off
.LBB20_229:
	s_mov_b64 s[0:1], 0
.LBB20_230:
	s_andn2_b64 vcc, exec, s[0:1]
	s_cbranch_vccnz .LBB20_232
; %bb.231:
	global_load_dword v2, v[0:1], off
	s_waitcnt vmcnt(0)
	v_cvt_f32_f16_e32 v2, v2
.LBB20_232:
	s_mov_b64 s[0:1], 0
.LBB20_233:
	s_andn2_b64 vcc, exec, s[0:1]
	s_cbranch_vccnz .LBB20_244
; %bb.234:
	v_cmp_gt_i16_e32 vcc, 6, v8
	s_cbranch_vccnz .LBB20_237
; %bb.235:
	v_cmp_lt_i16_e32 vcc, 6, v8
	s_cbranch_vccz .LBB20_238
; %bb.236:
	global_load_dwordx2 v[2:3], v[0:1], off
	s_mov_b64 s[0:1], 0
	s_waitcnt vmcnt(0)
	v_cvt_f32_f64_e32 v2, v[2:3]
	s_branch .LBB20_239
.LBB20_237:
	s_mov_b64 s[0:1], -1
                                        ; implicit-def: $vgpr2
	s_branch .LBB20_242
.LBB20_238:
	s_mov_b64 s[0:1], -1
                                        ; implicit-def: $vgpr2
.LBB20_239:
	s_andn2_b64 vcc, exec, s[0:1]
	s_cbranch_vccnz .LBB20_241
; %bb.240:
	global_load_dword v2, v[0:1], off
.LBB20_241:
	s_mov_b64 s[0:1], 0
.LBB20_242:
	s_andn2_b64 vcc, exec, s[0:1]
	s_cbranch_vccnz .LBB20_244
; %bb.243:
	global_load_ushort v2, v[0:1], off
	s_waitcnt vmcnt(0)
	v_cvt_f32_f16_e32 v2, v2
.LBB20_244:
	s_cbranch_execnz .LBB20_264
.LBB20_245:
	v_cmp_gt_i16_e32 vcc, 2, v8
	s_cbranch_vccnz .LBB20_249
; %bb.246:
	v_cmp_gt_i16_e32 vcc, 3, v8
	s_cbranch_vccnz .LBB20_250
; %bb.247:
	v_cmp_lt_i16_e32 vcc, 3, v8
	s_cbranch_vccz .LBB20_251
; %bb.248:
	global_load_dwordx2 v[2:3], v[0:1], off
	s_mov_b64 s[0:1], 0
	s_waitcnt vmcnt(0)
	v_xor_b32_e32 v5, v2, v3
	v_ffbh_i32_e32 v4, v3
	v_ashrrev_i32_e32 v5, 31, v5
	v_add_u32_e32 v4, -1, v4
	v_add_u32_e32 v5, 32, v5
	v_min_u32_e32 v4, v4, v5
	v_lshlrev_b64 v[2:3], v4, v[2:3]
	v_min_u32_e32 v2, 1, v2
	v_or_b32_e32 v2, v3, v2
	v_cvt_f32_i32_e32 v2, v2
	v_sub_u32_e32 v3, 32, v4
	v_ldexp_f32 v2, v2, v3
	s_branch .LBB20_252
.LBB20_249:
	s_mov_b64 s[0:1], -1
                                        ; implicit-def: $vgpr2
	s_branch .LBB20_258
.LBB20_250:
	s_mov_b64 s[0:1], -1
                                        ; implicit-def: $vgpr2
	s_branch .LBB20_255
.LBB20_251:
	s_mov_b64 s[0:1], -1
                                        ; implicit-def: $vgpr2
.LBB20_252:
	s_andn2_b64 vcc, exec, s[0:1]
	s_cbranch_vccnz .LBB20_254
; %bb.253:
	global_load_dword v2, v[0:1], off
	s_waitcnt vmcnt(0)
	v_cvt_f32_i32_e32 v2, v2
.LBB20_254:
	s_mov_b64 s[0:1], 0
.LBB20_255:
	s_andn2_b64 vcc, exec, s[0:1]
	s_cbranch_vccnz .LBB20_257
; %bb.256:
	global_load_sshort v2, v[0:1], off
	s_waitcnt vmcnt(0)
	v_cvt_f32_i32_e32 v2, v2
.LBB20_257:
	s_mov_b64 s[0:1], 0
.LBB20_258:
	s_andn2_b64 vcc, exec, s[0:1]
	s_cbranch_vccnz .LBB20_264
; %bb.259:
	v_cmp_lt_i16_e32 vcc, 0, v8
	s_cbranch_vccz .LBB20_261
; %bb.260:
	global_load_sbyte v2, v[0:1], off
	s_mov_b64 s[0:1], 0
	s_waitcnt vmcnt(0)
	v_cvt_f32_i32_e32 v2, v2
	s_branch .LBB20_262
.LBB20_261:
	s_mov_b64 s[0:1], -1
                                        ; implicit-def: $vgpr2
.LBB20_262:
	s_andn2_b64 vcc, exec, s[0:1]
	s_cbranch_vccnz .LBB20_264
; %bb.263:
	global_load_ubyte v0, v[0:1], off
	s_waitcnt vmcnt(0)
	v_cvt_f32_ubyte0_e32 v2, v0
.LBB20_264:
	s_branch .LBB20_11
.LBB20_265:
	s_mov_b64 s[0:1], 0
                                        ; implicit-def: $vgpr9
	s_mov_b64 s[2:3], 0
.LBB20_266:
	s_and_b64 s[16:17], s[0:1], exec
	s_and_b64 s[18:19], s[18:19], exec
	s_orn2_b64 s[2:3], s[2:3], exec
.LBB20_267:
	s_or_b64 exec, exec, s[20:21]
	s_mov_b64 s[4:5], 0
	s_mov_b64 s[0:1], 0
                                        ; implicit-def: $vgpr0_vgpr1
                                        ; implicit-def: $vgpr5
	s_and_saveexec_b64 s[20:21], s[2:3]
	s_cbranch_execz .LBB20_276
; %bb.268:
	v_cmp_gt_i32_e32 vcc, s33, v9
	s_mov_b64 s[0:1], -1
	s_mov_b64 s[22:23], s[18:19]
	s_mov_b64 s[24:25], s[16:17]
	s_and_saveexec_b64 s[26:27], vcc
	s_cbranch_execz .LBB20_544
; %bb.269:
	v_mul_lo_u32 v0, v9, s13
	v_ashrrev_i32_e32 v1, 31, v0
	s_waitcnt vmcnt(0)
	v_mov_b32_e32 v2, s11
	v_add_co_u32_e32 v0, vcc, s10, v0
	v_addc_co_u32_e32 v1, vcc, v2, v1, vcc
	v_cmp_gt_i16_e32 vcc, 11, v8
	s_cbranch_vccnz .LBB20_279
; %bb.270:
	v_cmp_lt_i16_e32 vcc, 25, v8
	s_cbranch_vccz .LBB20_290
; %bb.271:
	v_cmp_lt_i16_e32 vcc, 28, v8
	s_cbranch_vccz .LBB20_306
	;; [unrolled: 3-line block ×4, first 2 shown]
; %bb.274:
	v_cmp_eq_u16_e32 vcc, 46, v8
	s_mov_b64 s[2:3], 0
	s_cbranch_vccz .LBB20_316
; %bb.275:
	global_load_dword v2, v[0:1], off
	s_mov_b64 s[22:23], 0
	s_waitcnt vmcnt(0)
	v_lshlrev_b32_e32 v2, 16, v2
	s_branch .LBB20_317
.LBB20_276:
	s_or_b64 exec, exec, s[20:21]
	s_mov_b64 s[20:21], 0
	s_and_saveexec_b64 s[2:3], s[18:19]
	s_cbranch_execnz .LBB20_906
.LBB20_277:
	s_or_b64 exec, exec, s[2:3]
	s_and_saveexec_b64 s[2:3], s[24:25]
	s_xor_b64 s[2:3], exec, s[2:3]
	s_cbranch_execz .LBB20_907
.LBB20_278:
	global_load_ubyte v2, v[0:1], off
	s_or_b64 s[0:1], s[0:1], exec
	s_waitcnt vmcnt(0)
	v_cmp_ne_u16_e32 vcc, 0, v2
	v_cndmask_b32_e64 v5, 0, 1.0, vcc
	s_or_b64 exec, exec, s[2:3]
	s_and_saveexec_b64 s[2:3], s[4:5]
	s_cbranch_execz .LBB20_953
	s_branch .LBB20_908
.LBB20_279:
	s_mov_b64 s[0:1], 0
                                        ; implicit-def: $vgpr2
	s_mov_b64 s[22:23], s[18:19]
	s_cbranch_execnz .LBB20_494
.LBB20_280:
	s_andn2_b64 vcc, exec, s[0:1]
	s_cbranch_vccnz .LBB20_542
.LBB20_281:
	s_waitcnt vmcnt(0)
	v_cmp_gt_f32_e32 vcc, 0, v2
	v_cndmask_b32_e64 v1, v2, -v2, vcc
	s_mov_b32 s0, 0x40a00000
	v_cmp_ge_f32_e32 vcc, s0, v1
	v_mul_f32_e32 v2, v1, v1
                                        ; implicit-def: $vgpr0
	s_and_saveexec_b64 s[0:1], vcc
	s_xor_b64 s[0:1], exec, s[0:1]
	s_cbranch_execz .LBB20_287
; %bb.282:
	s_mov_b32 s2, 0x3727c5ac
	v_cmp_ngt_f32_e32 vcc, s2, v1
                                        ; implicit-def: $vgpr0
	s_and_saveexec_b64 s[2:3], vcc
	s_xor_b64 s[2:3], exec, s[2:3]
	s_cbranch_execz .LBB20_284
; %bb.283:
	v_mov_b32_e32 v1, 0x43f9c815
	v_fmac_f32_e32 v1, 0, v2
	v_mov_b32_e32 v3, 0x4829b65a
	v_fmac_f32_e32 v3, v2, v1
	;; [unrolled: 2-line block ×4, first 2 shown]
	s_mov_b32 s4, 0xcf8ee29d
	v_mul_f32_e32 v0, 0, v2
	v_mul_f32_e32 v1, v2, v3
	s_mov_b32 s5, 0x53f5f59c
	v_pk_add_f32 v[0:1], v[0:1], s[4:5]
	s_mov_b32 s4, 0x53e3ba8e
	s_mov_b32 s5, 0x578d3514
	v_pk_fma_f32 v[0:1], v[2:3], v[0:1], s[4:5] op_sel_hi:[0,1,1]
	s_mov_b32 s4, 0xd762b0a7
	s_mov_b32 s5, 0x5ae20a0c
	v_pk_fma_f32 v[0:1], v[2:3], v[0:1], s[4:5] op_sel_hi:[0,1,1]
	;; [unrolled: 3-line block ×3, first 2 shown]
	s_mov_b32 s4, 0xc0b90fdc
	s_mov_b32 s5, 0xc1f3c525
	v_pk_add_f32 v[2:3], v[2:3], s[4:5] op_sel_hi:[0,1]
	v_mul_f32_e32 v2, v2, v3
	v_mul_f32_e32 v0, v2, v0
	v_div_scale_f32 v2, s[4:5], v1, v1, v0
	v_rcp_f32_e32 v3, v2
	v_fma_f32 v4, -v2, v3, 1.0
	v_fmac_f32_e32 v3, v4, v3
	v_div_scale_f32 v4, vcc, v0, v1, v0
	v_mul_f32_e32 v5, v4, v3
	v_fma_f32 v6, -v2, v5, v4
	v_fmac_f32_e32 v5, v6, v3
	v_fma_f32 v2, -v2, v5, v4
	v_div_fmas_f32 v2, v2, v3, v5
	v_div_fixup_f32 v0, v2, v1, v0
                                        ; implicit-def: $vgpr2
.LBB20_284:
	s_andn2_saveexec_b64 s[2:3], s[2:3]
; %bb.285:
	s_mov_b32 s4, 0xbe800000
	v_fma_f32 v0, v2, s4, 1.0
; %bb.286:
	s_or_b64 exec, exec, s[2:3]
                                        ; implicit-def: $vgpr2
                                        ; implicit-def: $vgpr1
.LBB20_287:
	s_andn2_saveexec_b64 s[24:25], s[0:1]
	s_cbranch_execz .LBB20_298
; %bb.288:
	v_add_f32_e32 v0, 0xbf490fdb, v1
	v_and_b32_e32 v3, 0x7fffffff, v0
	s_brev_b32 s0, 18
	v_cmp_nlt_f32_e64 s[28:29], |v0|, s0
	v_lshrrev_b32_e32 v11, 23, v3
                                        ; implicit-def: $vgpr4
                                        ; implicit-def: $vgpr5
	s_and_saveexec_b64 s[0:1], s[28:29]
	s_xor_b64 s[30:31], exec, s[0:1]
	s_cbranch_execz .LBB20_291
; %bb.289:
	v_add_u32_e32 v4, 0xffffff88, v11
	v_not_b32_e32 v6, 63
	v_cmp_lt_u32_e32 vcc, 63, v4
	v_cndmask_b32_e32 v6, 0, v6, vcc
	v_add_u32_e32 v4, v6, v4
	v_not_b32_e32 v6, 31
	v_cmp_lt_u32_e64 s[0:1], 31, v4
	v_cndmask_b32_e64 v7, 0, v6, s[0:1]
	v_add_u32_e32 v4, v7, v4
	v_cmp_lt_u32_e64 s[2:3], 31, v4
	v_cndmask_b32_e64 v6, 0, v6, s[2:3]
	v_add_u32_e32 v22, v6, v4
	v_and_b32_e32 v4, 0x7fffff, v3
	v_or_b32_e32 v23, 0x800000, v4
	s_mov_b32 s4, 0xfe5163ab
	v_mad_u64_u32 v[6:7], s[4:5], v23, s4, 0
	v_mov_b32_e32 v5, 0
	v_mov_b32_e32 v4, v7
	s_mov_b32 s4, 0x3c439041
	v_mad_u64_u32 v[12:13], s[4:5], v23, s4, v[4:5]
	v_mov_b32_e32 v4, v13
	s_mov_b32 s4, 0xdb629599
	v_mad_u64_u32 v[14:15], s[4:5], v23, s4, v[4:5]
	;; [unrolled: 3-line block ×6, first 2 shown]
	v_cndmask_b32_e32 v7, v20, v16, vcc
	v_cndmask_b32_e32 v4, v4, v18, vcc
	;; [unrolled: 1-line block ×3, first 2 shown]
	v_cndmask_b32_e64 v13, v4, v7, s[0:1]
	v_cndmask_b32_e64 v4, v5, v4, s[0:1]
	v_cndmask_b32_e32 v5, v18, v14, vcc
	v_cndmask_b32_e64 v7, v7, v5, s[0:1]
	v_cndmask_b32_e32 v12, v16, v12, vcc
	v_cndmask_b32_e64 v4, v4, v13, s[2:3]
	v_cndmask_b32_e64 v13, v13, v7, s[2:3]
	v_sub_u32_e32 v15, 32, v22
	v_cndmask_b32_e64 v5, v5, v12, s[0:1]
	v_alignbit_b32 v17, v4, v13, v15
	v_cmp_eq_u32_e64 s[4:5], 0, v22
	v_cndmask_b32_e64 v7, v7, v5, s[2:3]
	v_cndmask_b32_e64 v4, v17, v4, s[4:5]
	v_alignbit_b32 v16, v13, v7, v15
	v_cndmask_b32_e64 v13, v16, v13, s[4:5]
	v_bfe_u32 v18, v4, 29, 1
	v_cndmask_b32_e32 v6, v14, v6, vcc
	v_alignbit_b32 v16, v4, v13, 30
	v_sub_u32_e32 v19, 0, v18
	v_cndmask_b32_e64 v6, v12, v6, s[0:1]
	v_xor_b32_e32 v20, v16, v19
	v_cndmask_b32_e64 v5, v5, v6, s[2:3]
	v_alignbit_b32 v6, v7, v5, v15
	v_ffbh_u32_e32 v12, v20
	v_cndmask_b32_e64 v6, v6, v7, s[4:5]
	v_add_u32_e32 v12, 1, v12
	v_cmp_ne_u32_e32 vcc, v16, v19
	v_alignbit_b32 v7, v13, v6, 30
	v_cndmask_b32_e32 v12, 33, v12, vcc
	v_alignbit_b32 v5, v6, v5, 30
	v_xor_b32_e32 v7, v7, v19
	v_sub_u32_e32 v13, 32, v12
	v_xor_b32_e32 v5, v5, v19
	v_alignbit_b32 v14, v20, v7, v13
	v_alignbit_b32 v5, v7, v5, v13
	v_alignbit_b32 v6, v14, v5, 9
	v_ffbh_u32_e32 v7, v6
	v_min_u32_e32 v7, 32, v7
	v_lshrrev_b32_e32 v17, 29, v4
	v_sub_u32_e32 v13, 31, v7
	v_alignbit_b32 v5, v6, v5, v13
	v_lshlrev_b32_e32 v6, 31, v17
	v_or_b32_e32 v13, 0x33800000, v6
	v_add_lshl_u32 v7, v7, v12, 23
	v_lshrrev_b32_e32 v5, 9, v5
	v_sub_u32_e32 v7, v13, v7
	v_or_b32_e32 v5, v7, v5
	v_alignbit_b32 v7, v12, v14, 9
	v_or_b32_e32 v6, v7, v6
	v_xor_b32_e32 v6, 1.0, v6
	s_mov_b32 s0, 0x3fc90fda
	v_mul_f32_e32 v7, 0x3fc90fda, v6
	v_fma_f32 v12, v6, s0, -v7
	v_fmac_f32_e32 v12, 0x33a22168, v6
	v_fmac_f32_e32 v12, 0x3fc90fda, v5
	v_lshrrev_b32_e32 v4, 30, v4
	v_add_f32_e32 v5, v7, v12
	v_add_u32_e32 v4, v18, v4
	s_andn2_saveexec_b64 s[0:1], s[30:31]
	s_branch .LBB20_292
.LBB20_290:
	s_mov_b64 s[2:3], -1
	s_mov_b64 s[0:1], 0
	s_mov_b64 s[22:23], s[18:19]
                                        ; implicit-def: $vgpr2
	s_branch .LBB20_458
.LBB20_291:
	s_andn2_saveexec_b64 s[0:1], s[30:31]
.LBB20_292:
	s_mov_b32 s2, 0x3f22f983
	v_mul_f32_e64 v4, |v0|, s2
	v_rndne_f32_e32 v6, v4
	s_mov_b32 s2, 0xbfc90fda
	v_cvt_i32_f32_e32 v4, v6
	v_fma_f32 v5, v6, s2, |v0|
	v_fmac_f32_e32 v5, 0xb3a22168, v6
	v_fmac_f32_e32 v5, 0xa7c234c4, v6
; %bb.293:
	s_or_b64 exec, exec, s[0:1]
                                        ; implicit-def: $vgpr6
                                        ; implicit-def: $vgpr7
	s_and_saveexec_b64 s[0:1], s[28:29]
	s_xor_b64 s[28:29], exec, s[0:1]
	s_cbranch_execz .LBB20_295
; %bb.294:
	v_add_u32_e32 v6, 0xffffff88, v11
	v_not_b32_e32 v11, 63
	v_cmp_lt_u32_e32 vcc, 63, v6
	v_cndmask_b32_e32 v11, 0, v11, vcc
	v_add_u32_e32 v6, v11, v6
	v_not_b32_e32 v11, 31
	v_cmp_lt_u32_e64 s[0:1], 31, v6
	v_cndmask_b32_e64 v12, 0, v11, s[0:1]
	v_add_u32_e32 v6, v12, v6
	v_cmp_lt_u32_e64 s[2:3], 31, v6
	v_cndmask_b32_e64 v11, 0, v11, s[2:3]
	v_add_u32_e32 v11, v11, v6
	v_and_b32_e32 v6, 0x7fffff, v3
	v_or_b32_e32 v24, 0x800000, v6
	s_mov_b32 s4, 0xfe5163ab
	v_mad_u64_u32 v[12:13], s[4:5], v24, s4, 0
	v_mov_b32_e32 v7, 0
	v_mov_b32_e32 v6, v13
	s_mov_b32 s4, 0x3c439041
	v_mad_u64_u32 v[14:15], s[4:5], v24, s4, v[6:7]
	v_mov_b32_e32 v6, v15
	s_mov_b32 s4, 0xdb629599
	v_mad_u64_u32 v[16:17], s[4:5], v24, s4, v[6:7]
	;; [unrolled: 3-line block ×6, first 2 shown]
	v_cndmask_b32_e32 v13, v22, v18, vcc
	v_cndmask_b32_e32 v6, v6, v20, vcc
	;; [unrolled: 1-line block ×3, first 2 shown]
	v_cndmask_b32_e64 v15, v6, v13, s[0:1]
	v_cndmask_b32_e64 v6, v7, v6, s[0:1]
	v_cndmask_b32_e32 v7, v20, v16, vcc
	v_cndmask_b32_e64 v13, v13, v7, s[0:1]
	v_sub_u32_e32 v17, 32, v11
	v_cmp_eq_u32_e64 s[4:5], 0, v11
	v_cndmask_b32_e32 v11, v18, v14, vcc
	v_cndmask_b32_e64 v6, v6, v15, s[2:3]
	v_cndmask_b32_e64 v15, v15, v13, s[2:3]
	;; [unrolled: 1-line block ×3, first 2 shown]
	v_alignbit_b32 v19, v6, v15, v17
	v_cndmask_b32_e64 v13, v13, v7, s[2:3]
	v_cndmask_b32_e64 v6, v19, v6, s[4:5]
	v_alignbit_b32 v14, v15, v13, v17
	v_cndmask_b32_e32 v12, v16, v12, vcc
	v_cndmask_b32_e64 v14, v14, v15, s[4:5]
	v_bfe_u32 v19, v6, 29, 1
	v_cndmask_b32_e64 v11, v11, v12, s[0:1]
	v_alignbit_b32 v15, v6, v14, 30
	v_sub_u32_e32 v20, 0, v19
	v_cndmask_b32_e64 v7, v7, v11, s[2:3]
	v_xor_b32_e32 v21, v15, v20
	v_alignbit_b32 v11, v13, v7, v17
	v_cndmask_b32_e64 v11, v11, v13, s[4:5]
	v_ffbh_u32_e32 v13, v21
	v_add_u32_e32 v13, 1, v13
	v_cmp_ne_u32_e32 vcc, v15, v20
	v_alignbit_b32 v12, v14, v11, 30
	v_cndmask_b32_e32 v13, 33, v13, vcc
	v_alignbit_b32 v7, v11, v7, 30
	v_xor_b32_e32 v12, v12, v20
	v_sub_u32_e32 v14, 32, v13
	v_xor_b32_e32 v7, v7, v20
	v_alignbit_b32 v15, v21, v12, v14
	v_alignbit_b32 v7, v12, v7, v14
	;; [unrolled: 1-line block ×3, first 2 shown]
	v_ffbh_u32_e32 v12, v11
	v_min_u32_e32 v12, 32, v12
	v_lshrrev_b32_e32 v18, 29, v6
	v_sub_u32_e32 v14, 31, v12
	v_alignbit_b32 v7, v11, v7, v14
	v_lshlrev_b32_e32 v11, 31, v18
	v_or_b32_e32 v14, 0x33800000, v11
	v_add_lshl_u32 v12, v12, v13, 23
	v_lshrrev_b32_e32 v7, 9, v7
	v_sub_u32_e32 v12, v14, v12
	v_or_b32_e32 v7, v12, v7
	v_alignbit_b32 v12, v13, v15, 9
	v_or_b32_e32 v11, v12, v11
	v_xor_b32_e32 v11, 1.0, v11
	s_mov_b32 s0, 0x3fc90fda
	v_mul_f32_e32 v12, 0x3fc90fda, v11
	v_fma_f32 v13, v11, s0, -v12
	v_fmac_f32_e32 v13, 0x33a22168, v11
	v_fmac_f32_e32 v13, 0x3fc90fda, v7
	v_lshrrev_b32_e32 v6, 30, v6
	v_add_f32_e32 v7, v12, v13
	v_add_u32_e32 v6, v19, v6
	s_andn2_saveexec_b64 s[0:1], s[28:29]
	s_cbranch_execnz .LBB20_296
	s_branch .LBB20_297
.LBB20_295:
	s_andn2_saveexec_b64 s[0:1], s[28:29]
.LBB20_296:
	s_mov_b32 s2, 0x3f22f983
	v_mul_f32_e64 v6, |v0|, s2
	v_rndne_f32_e32 v11, v6
	s_mov_b32 s2, 0xbfc90fda
	v_cvt_i32_f32_e32 v6, v11
	v_fma_f32 v7, v11, s2, |v0|
	v_fmac_f32_e32 v7, 0xb3a22168, v11
	v_fmac_f32_e32 v7, 0xa7c234c4, v11
.LBB20_297:
	s_or_b64 exec, exec, s[0:1]
	s_mov_b32 s2, 0x41c80000
	v_div_scale_f32 v11, s[0:1], v2, v2, s2
	v_rcp_f32_e32 v12, v11
	v_div_scale_f32 v13, vcc, s2, v2, s2
	v_mov_b32_e32 v19, 0xbf000004
	v_fma_f32 v14, -v11, v12, 1.0
	v_fmac_f32_e32 v12, v14, v12
	v_mul_f32_e32 v14, v13, v12
	v_fma_f32 v15, -v11, v14, v13
	v_fmac_f32_e32 v14, v15, v12
	v_fma_f32 v11, -v11, v14, v13
	v_div_fmas_f32 v11, v11, v12, v14
	v_div_fixup_f32 v2, v11, v2, s2
	v_mov_b32_e32 v11, 0x3a50e985
	v_fmac_f32_e32 v11, 0, v2
	v_mov_b32_e32 v12, 0x3da9a586
	v_fmac_f32_e32 v12, v2, v11
	;; [unrolled: 2-line block ×12, first 2 shown]
	v_fma_f32 v11, v2, v13, 1.0
	v_mov_b32_e32 v13, 0xbc3a3a12
	v_fmac_f32_e32 v13, 0, v2
	v_mov_b32_e32 v14, 0xbfa429da
	v_fmac_f32_e32 v14, v2, v13
	;; [unrolled: 2-line block ×9, first 2 shown]
	v_mov_b32_e32 v15, 0x44561b86
	v_fma_f32 v12, v2, v12, 1.0
	v_fmac_f32_e32 v15, v2, v13
	v_mov_b32_e32 v13, 0x4572a66e
	v_div_scale_f32 v16, s[0:1], v11, v11, v12
	v_fmac_f32_e32 v13, v2, v15
	v_mov_b32_e32 v15, 0x45e243be
	v_rcp_f32_e32 v17, v16
	v_fmac_f32_e32 v15, v2, v13
	v_mov_b32_e32 v13, 0x45b955d1
	v_fmac_f32_e32 v13, v2, v15
	v_mov_b32_e32 v15, 0x4500e17e
	;; [unrolled: 2-line block ×3, first 2 shown]
	v_fmac_f32_e32 v13, v2, v15
	v_fma_f32 v2, -v16, v17, 1.0
	v_fmac_f32_e32 v17, v2, v17
	v_div_scale_f32 v2, vcc, v12, v11, v12
	v_mul_f32_e32 v15, v2, v17
	v_fma_f32 v18, -v16, v15, v2
	v_fmac_f32_e32 v15, v18, v17
	v_fma_f32 v2, -v16, v15, v2
	v_div_fmas_f32 v2, v2, v17, v15
	v_div_fixup_f32 v2, v2, v11, v12
	v_mul_f32_e32 v11, v5, v5
	v_mov_b32_e32 v17, 0xbab64f3b
	v_mov_b32_e32 v15, 0x3c0881c4
	v_fmac_f32_e32 v17, 0x37d75334, v11
	v_mov_b32_e32 v18, 0x3d2aabf7
	v_fmac_f32_e32 v15, 0xb94c1982, v11
	v_mov_b32_e32 v16, 0xbe2aaa9d
	v_fma_f32 v17, v11, v17, v18
	v_fma_f32 v15, v11, v15, v16
	;; [unrolled: 1-line block ×3, first 2 shown]
	v_mul_f32_e32 v15, v11, v15
	v_fma_f32 v11, v11, v17, 1.0
	v_and_b32_e32 v17, 1, v4
	v_fmac_f32_e32 v5, v5, v15
	v_cmp_eq_u32_e32 vcc, 0, v17
	v_lshlrev_b32_e32 v4, 30, v4
	v_cndmask_b32_e64 v5, -v5, v11, vcc
	v_and_b32_e32 v4, 0x80000000, v4
	s_mov_b32 s4, 0xc0a00000
	v_xor_b32_e32 v4, v4, v5
	v_div_scale_f32 v5, s[0:1], v1, v1, s4
	v_rcp_f32_e32 v11, v5
	s_movk_i32 s2, 0x1f8
	v_cmp_class_f32_e64 s[0:1], v0, s2
	v_mov_b32_e32 v12, 0x3c0881c4
	v_fma_f32 v20, -v5, v11, 1.0
	v_fmac_f32_e32 v11, v20, v11
	v_div_scale_f32 v20, vcc, s4, v1, s4
	v_mul_f32_e32 v21, v20, v11
	v_fma_f32 v22, -v5, v21, v20
	v_fmac_f32_e32 v21, v22, v11
	v_fma_f32 v5, -v5, v21, v20
	v_div_scale_f32 v20, s[2:3], v13, v13, v14
	v_rcp_f32_e32 v22, v20
	v_div_fmas_f32 v5, v5, v11, v21
	v_div_fixup_f32 v5, v5, v1, s4
	v_mov_b32_e32 v15, 0xbab64f3b
	v_fma_f32 v11, -v20, v22, 1.0
	v_fmac_f32_e32 v22, v11, v22
	v_div_scale_f32 v11, vcc, v14, v13, v14
	v_mul_f32_e32 v21, v11, v22
	v_fma_f32 v23, -v20, v21, v11
	v_fmac_f32_e32 v21, v23, v22
	v_fma_f32 v11, -v20, v21, v11
	v_div_fmas_f32 v11, v11, v22, v21
	v_div_fixup_f32 v11, v11, v13, v14
	v_mul_f32_e32 v5, v5, v11
	v_mul_f32_e32 v11, v7, v7
	v_fmac_f32_e32 v12, 0xb94c1982, v11
	v_fmac_f32_e32 v16, v11, v12
	v_fmac_f32_e32 v15, 0x37d75334, v11
	v_mul_f32_e32 v12, v11, v16
	v_fmac_f32_e32 v18, v11, v15
	v_fmac_f32_e32 v7, v7, v12
	;; [unrolled: 1-line block ×3, first 2 shown]
	v_and_b32_e32 v12, 1, v6
	v_lshlrev_b32_e32 v6, 30, v6
	v_fma_f32 v11, v11, v19, 1.0
	v_cmp_eq_u32_e32 vcc, 0, v12
	v_and_b32_e32 v6, 0x80000000, v6
	v_xor_b32_e32 v0, v3, v0
	v_cndmask_b32_e32 v7, v11, v7, vcc
	v_xor_b32_e32 v0, v0, v6
	v_mov_b32_e32 v17, 0x7fc00000
	v_xor_b32_e32 v0, v0, v7
	v_cndmask_b32_e64 v4, v17, v4, s[0:1]
	v_cndmask_b32_e64 v0, v17, v0, s[0:1]
	s_mov_b32 s0, 0xf800000
	v_mul_f32_e32 v3, 0x4f800000, v1
	v_cmp_gt_f32_e32 vcc, s0, v1
	v_cndmask_b32_e32 v1, v1, v3, vcc
	v_sqrt_f32_e32 v3, v1
	v_mul_f32_e32 v0, v5, v0
	v_fmac_f32_e32 v0, v2, v4
	v_mul_f32_e32 v0, 0x3f4c422a, v0
	v_add_u32_e32 v2, -1, v3
	v_fma_f32 v4, -v2, v3, v1
	v_cmp_ge_f32_e64 s[0:1], 0, v4
	v_add_u32_e32 v4, 1, v3
	v_cndmask_b32_e64 v2, v3, v2, s[0:1]
	v_fma_f32 v3, -v4, v3, v1
	v_cmp_lt_f32_e64 s[0:1], 0, v3
	v_cndmask_b32_e64 v2, v2, v4, s[0:1]
	v_mul_f32_e32 v3, 0x37800000, v2
	v_cndmask_b32_e32 v2, v2, v3, vcc
	v_mov_b32_e32 v3, 0x260
	v_cmp_class_f32_e32 vcc, v1, v3
	v_cndmask_b32_e32 v1, v2, v1, vcc
	v_div_scale_f32 v2, s[0:1], v1, v1, v0
	v_rcp_f32_e32 v3, v2
	v_fma_f32 v4, -v2, v3, 1.0
	v_fmac_f32_e32 v3, v4, v3
	v_div_scale_f32 v4, vcc, v0, v1, v0
	v_mul_f32_e32 v5, v4, v3
	v_fma_f32 v6, -v2, v5, v4
	v_fmac_f32_e32 v5, v6, v3
	v_fma_f32 v2, -v2, v5, v4
	v_div_fmas_f32 v2, v2, v3, v5
	v_div_fixup_f32 v0, v2, v1, v0
.LBB20_298:
	s_or_b64 exec, exec, s[24:25]
	v_mul_lo_u32 v1, v9, s12
	v_ashrrev_i32_e32 v3, 31, v1
	v_mov_b32_e32 v4, s9
	v_add_co_u32_e32 v2, vcc, s8, v1
	v_mov_b32_e32 v1, 11
	v_addc_co_u32_e32 v3, vcc, v4, v3, vcc
	v_cmp_lt_i16_sdwa s[0:1], v10, v1 src0_sel:BYTE_0 src1_sel:DWORD
	s_and_b64 vcc, exec, s[0:1]
	s_cbranch_vccnz .LBB20_305
; %bb.299:
	v_mov_b32_e32 v1, 25
	v_cmp_gt_i16_sdwa s[0:1], v10, v1 src0_sel:BYTE_0 src1_sel:DWORD
	s_and_b64 vcc, exec, s[0:1]
	s_cbranch_vccz .LBB20_307
; %bb.300:
	v_mov_b32_e32 v1, 28
	v_cmp_gt_i16_sdwa s[0:1], v10, v1 src0_sel:BYTE_0 src1_sel:DWORD
	s_and_b64 vcc, exec, s[0:1]
	s_cbranch_vccz .LBB20_309
	;; [unrolled: 5-line block ×4, first 2 shown]
; %bb.303:
	v_mov_b32_e32 v1, 46
	v_cmp_eq_u16_sdwa s[2:3], v10, v1 src0_sel:BYTE_0 src1_sel:DWORD
	s_mov_b64 s[4:5], 0
	s_mov_b64 s[0:1], -1
	s_and_b64 vcc, exec, s[2:3]
	s_mov_b64 s[2:3], 0
	s_cbranch_vccz .LBB20_321
; %bb.304:
	v_bfe_u32 v1, v0, 16, 1
	s_movk_i32 s0, 0x7fff
	v_add3_u32 v1, v0, v1, s0
	v_lshrrev_b32_e32 v1, 16, v1
	v_mov_b32_e32 v4, 0x7fc0
	v_cmp_o_f32_e32 vcc, v0, v0
	v_cndmask_b32_e32 v1, v4, v1, vcc
	global_store_dword v[2:3], v1, off
	s_mov_b64 s[2:3], -1
	s_mov_b64 s[0:1], 0
	s_branch .LBB20_321
.LBB20_305:
	s_mov_b64 s[4:5], -1
	s_mov_b64 s[2:3], 0
	s_mov_b64 s[0:1], s[16:17]
	s_branch .LBB20_390
.LBB20_306:
	s_mov_b64 s[2:3], -1
	s_mov_b64 s[0:1], 0
	s_mov_b64 s[22:23], s[18:19]
                                        ; implicit-def: $vgpr2
	s_branch .LBB20_439
.LBB20_307:
	s_mov_b64 s[4:5], -1
	s_mov_b64 s[2:3], 0
	s_mov_b64 s[0:1], s[16:17]
	s_branch .LBB20_348
.LBB20_308:
	s_mov_b64 s[2:3], -1
	s_mov_b64 s[0:1], 0
	s_mov_b64 s[22:23], s[18:19]
                                        ; implicit-def: $vgpr2
	s_branch .LBB20_434
.LBB20_309:
	s_mov_b64 s[4:5], -1
	s_mov_b64 s[2:3], 0
	s_mov_b64 s[0:1], s[16:17]
	s_branch .LBB20_331
.LBB20_310:
	s_or_saveexec_b64 s[16:17], s[16:17]
                                        ; implicit-def: $sgpr22
	s_xor_b64 exec, exec, s[16:17]
	s_cbranch_execz .LBB20_70
.LBB20_311:
	s_mov_b32 s22, 0x46000000
	v_add_f32_e64 v1, |v0|, s22
	v_and_b32_e32 v1, 0xff, v1
	v_cmp_ne_u32_e32 vcc, 0, v1
	s_andn2_b64 s[4:5], s[4:5], exec
	s_and_b64 s[26:27], vcc, exec
	s_mov_b32 s22, 0
	s_or_b64 s[4:5], s[4:5], s[26:27]
	s_or_b64 exec, exec, s[16:17]
	v_mov_b32_e32 v4, s22
	s_and_saveexec_b64 s[16:17], s[4:5]
	s_cbranch_execnz .LBB20_71
	s_branch .LBB20_72
.LBB20_312:
	s_mov_b64 s[2:3], -1
	s_mov_b64 s[0:1], 0
	s_mov_b64 s[22:23], s[18:19]
                                        ; implicit-def: $vgpr2
	s_branch .LBB20_317
.LBB20_313:
	s_mov_b64 s[4:5], -1
	s_mov_b64 s[2:3], 0
	s_mov_b64 s[0:1], s[16:17]
	s_branch .LBB20_327
.LBB20_314:
	s_or_saveexec_b64 s[16:17], s[16:17]
                                        ; implicit-def: $sgpr22
	s_xor_b64 exec, exec, s[16:17]
	s_cbranch_execz .LBB20_83
.LBB20_315:
	s_mov_b32 s22, 0x42800000
	v_add_f32_e64 v1, |v0|, s22
	v_and_b32_e32 v1, 0xff, v1
	v_cmp_ne_u32_e32 vcc, 0, v1
	s_andn2_b64 s[4:5], s[4:5], exec
	s_and_b64 s[26:27], vcc, exec
	s_mov_b32 s22, 0
	s_or_b64 s[4:5], s[4:5], s[26:27]
	s_or_b64 exec, exec, s[16:17]
	v_mov_b32_e32 v4, s22
	s_and_saveexec_b64 s[16:17], s[4:5]
	s_cbranch_execnz .LBB20_84
	s_branch .LBB20_85
.LBB20_316:
	s_mov_b64 s[22:23], -1
                                        ; implicit-def: $vgpr2
	s_mov_b64 s[0:1], 0
.LBB20_317:
	s_and_b64 vcc, exec, s[2:3]
	s_cbranch_vccz .LBB20_433
; %bb.318:
	v_cmp_eq_u16_e32 vcc, 44, v8
	s_cbranch_vccz .LBB20_432
; %bb.319:
	global_load_ubyte v2, v[0:1], off
	s_movk_i32 s2, 0xff
	v_mov_b32_e32 v3, 0x7f800001
	v_mov_b32_e32 v4, 0x400000
	s_mov_b64 s[0:1], -1
	s_mov_b64 s[22:23], 0
	s_waitcnt vmcnt(0)
	v_lshlrev_b32_e32 v5, 23, v2
	v_cmp_ne_u32_e32 vcc, s2, v2
	v_cndmask_b32_e32 v3, v3, v5, vcc
	v_cmp_ne_u32_e32 vcc, 0, v2
	v_cndmask_b32_e32 v2, v4, v3, vcc
	s_branch .LBB20_433
.LBB20_320:
	s_mov_b64 s[4:5], -1
	s_mov_b64 s[2:3], 0
	s_mov_b64 s[0:1], s[16:17]
.LBB20_321:
	s_and_b64 vcc, exec, s[4:5]
	s_cbranch_vccz .LBB20_326
; %bb.322:
	v_mov_b32_e32 v1, 44
	v_cmp_eq_u16_sdwa s[4:5], v10, v1 src0_sel:BYTE_0 src1_sel:DWORD
	s_mov_b64 s[0:1], -1
	s_and_b64 vcc, exec, s[4:5]
	s_cbranch_vccz .LBB20_326
; %bb.323:
	v_bfe_u32 v1, v0, 23, 8
	s_movk_i32 s0, 0xff
	v_cmp_ne_u32_e32 vcc, s0, v1
	v_mov_b32_e32 v4, 0xff
	s_and_saveexec_b64 s[2:3], vcc
; %bb.324:
	s_mov_b32 s0, 0x3fffff
	v_and_b32_e32 v5, 0x400000, v0
	v_and_or_b32 v1, v0, s0, v1
	v_cmp_ne_u32_e32 vcc, 0, v5
	v_cmp_ne_u32_e64 s[0:1], 0, v1
	s_and_b64 s[0:1], vcc, s[0:1]
	v_lshrrev_b32_e32 v4, 23, v0
	v_cndmask_b32_e64 v1, 0, 1, s[0:1]
	v_add_u32_e32 v4, v4, v1
; %bb.325:
	s_or_b64 exec, exec, s[2:3]
	s_mov_b64 s[2:3], -1
	s_mov_b64 s[0:1], 0
	global_store_byte v[2:3], v4, off
.LBB20_326:
	s_mov_b64 s[4:5], 0
.LBB20_327:
	s_and_b64 vcc, exec, s[4:5]
	s_cbranch_vccz .LBB20_330
; %bb.328:
	v_mov_b32_e32 v1, 29
	v_cmp_eq_u16_sdwa s[4:5], v10, v1 src0_sel:BYTE_0 src1_sel:DWORD
	s_mov_b64 s[0:1], -1
	s_and_b64 vcc, exec, s[4:5]
	s_cbranch_vccz .LBB20_330
; %bb.329:
	v_trunc_f32_e32 v1, v0
	v_mul_f32_e32 v4, 0x2f800000, v1
	v_floor_f32_e32 v4, v4
	v_fmac_f32_e32 v1, 0xcf800000, v4
	v_cvt_u32_f32_e32 v5, v4
	v_cvt_u32_f32_e32 v4, v1
	s_mov_b64 s[2:3], -1
	s_mov_b64 s[0:1], 0
	s_mov_b64 s[4:5], 0
	global_store_dwordx2 v[2:3], v[4:5], off
	s_branch .LBB20_331
.LBB20_330:
	s_mov_b64 s[4:5], 0
.LBB20_331:
	s_and_b64 vcc, exec, s[4:5]
	s_cbranch_vccz .LBB20_347
; %bb.332:
	v_mov_b32_e32 v1, 27
	v_cmp_lt_i16_sdwa s[4:5], v10, v1 src0_sel:BYTE_0 src1_sel:DWORD
	s_mov_b64 s[2:3], -1
	s_and_b64 vcc, exec, s[4:5]
	s_cbranch_vccnz .LBB20_338
; %bb.333:
	v_cmp_gt_i16_sdwa s[4:5], v10, v1 src0_sel:BYTE_0 src1_sel:DWORD
	v_cvt_u32_f32_e32 v1, v0
	s_and_b64 vcc, exec, s[4:5]
	s_cbranch_vccz .LBB20_335
; %bb.334:
	s_mov_b64 s[2:3], 0
	global_store_dword v[2:3], v1, off
.LBB20_335:
	s_andn2_b64 vcc, exec, s[2:3]
	s_cbranch_vccnz .LBB20_337
; %bb.336:
	global_store_short v[2:3], v1, off
.LBB20_337:
	s_mov_b64 s[2:3], 0
.LBB20_338:
	s_andn2_b64 vcc, exec, s[2:3]
	s_cbranch_vccnz .LBB20_346
; %bb.339:
	v_and_b32_e32 v1, 0x7fffffff, v0
	s_mov_b32 s2, 0x43800000
	v_cmp_gt_u32_e32 vcc, s2, v1
	v_mov_b32_e32 v4, 0x80
	s_and_saveexec_b64 s[2:3], vcc
	s_cbranch_execz .LBB20_345
; %bb.340:
	s_mov_b32 s4, 0x3bffffff
	v_cmp_lt_u32_e32 vcc, s4, v1
	s_mov_b64 s[4:5], 0
                                        ; implicit-def: $vgpr1
	s_and_saveexec_b64 s[24:25], vcc
	s_xor_b64 s[24:25], exec, s[24:25]
	s_cbranch_execz .LBB20_557
; %bb.341:
	v_bfe_u32 v1, v0, 20, 1
	s_mov_b32 s28, 0x487ffff
	v_add3_u32 v1, v0, v1, s28
	s_mov_b64 s[4:5], exec
	v_lshrrev_b32_e32 v1, 20, v1
	s_or_saveexec_b64 s[24:25], s[24:25]
                                        ; implicit-def: $sgpr28
	s_xor_b64 exec, exec, s[24:25]
	s_cbranch_execnz .LBB20_558
.LBB20_342:
	s_or_b64 exec, exec, s[24:25]
	v_mov_b32_e32 v4, s28
	s_and_saveexec_b64 s[24:25], s[4:5]
.LBB20_343:
	v_lshrrev_b32_e32 v4, 24, v0
	s_movk_i32 s4, 0x80
	v_and_or_b32 v4, v4, s4, v1
.LBB20_344:
	s_or_b64 exec, exec, s[24:25]
.LBB20_345:
	s_or_b64 exec, exec, s[2:3]
	global_store_byte v[2:3], v4, off
.LBB20_346:
	s_mov_b64 s[2:3], -1
.LBB20_347:
	s_mov_b64 s[4:5], 0
.LBB20_348:
	s_and_b64 vcc, exec, s[4:5]
	s_cbranch_vccz .LBB20_389
; %bb.349:
	v_mov_b32_e32 v1, 22
	v_cmp_gt_i16_sdwa s[24:25], v10, v1 src0_sel:BYTE_0 src1_sel:DWORD
	s_mov_b64 s[4:5], -1
	s_and_b64 vcc, exec, s[24:25]
	s_cbranch_vccz .LBB20_381
; %bb.350:
	v_mov_b32_e32 v1, 24
	v_cmp_lt_i16_sdwa s[4:5], v10, v1 src0_sel:BYTE_0 src1_sel:DWORD
	s_mov_b64 s[2:3], -1
	s_and_b64 vcc, exec, s[4:5]
	s_cbranch_vccnz .LBB20_370
; %bb.351:
	v_cmp_gt_i16_sdwa s[4:5], v10, v1 src0_sel:BYTE_0 src1_sel:DWORD
	s_and_b64 vcc, exec, s[4:5]
	s_cbranch_vccz .LBB20_359
; %bb.352:
	v_and_b32_e32 v1, 0x7fffffff, v0
	s_mov_b32 s2, 0x47800000
	v_cmp_gt_u32_e32 vcc, s2, v1
	v_mov_b32_e32 v4, 0x80
	s_and_saveexec_b64 s[2:3], vcc
	s_cbranch_execz .LBB20_358
; %bb.353:
	s_mov_b32 s4, 0x37ffffff
	v_cmp_lt_u32_e32 vcc, s4, v1
	s_mov_b64 s[4:5], 0
                                        ; implicit-def: $vgpr1
	s_and_saveexec_b64 s[24:25], vcc
	s_xor_b64 s[24:25], exec, s[24:25]
	s_cbranch_execz .LBB20_560
; %bb.354:
	v_bfe_u32 v1, v0, 21, 1
	s_mov_b32 s28, 0x88fffff
	v_add3_u32 v1, v0, v1, s28
	s_mov_b64 s[4:5], exec
	v_lshrrev_b32_e32 v1, 21, v1
	s_or_saveexec_b64 s[24:25], s[24:25]
                                        ; implicit-def: $sgpr28
	s_xor_b64 exec, exec, s[24:25]
	s_cbranch_execnz .LBB20_561
.LBB20_355:
	s_or_b64 exec, exec, s[24:25]
	v_mov_b32_e32 v4, s28
	s_and_saveexec_b64 s[24:25], s[4:5]
.LBB20_356:
	v_lshrrev_b32_e32 v4, 24, v0
	s_movk_i32 s4, 0x80
	v_and_or_b32 v4, v4, s4, v1
.LBB20_357:
	s_or_b64 exec, exec, s[24:25]
.LBB20_358:
	s_or_b64 exec, exec, s[2:3]
	s_mov_b64 s[2:3], 0
	global_store_byte v[2:3], v4, off
.LBB20_359:
	s_and_b64 vcc, exec, s[2:3]
	s_cbranch_vccz .LBB20_369
; %bb.360:
	v_and_b32_e32 v4, 0x7fffffff, v0
	s_mov_b32 s2, 0x43f00000
	v_cmp_gt_u32_e32 vcc, s2, v4
                                        ; implicit-def: $vgpr1
	s_and_saveexec_b64 s[2:3], vcc
	s_xor_b64 s[2:3], exec, s[2:3]
	s_cbranch_execz .LBB20_366
; %bb.361:
	s_mov_b32 s4, 0x3c7fffff
	v_cmp_lt_u32_e32 vcc, s4, v4
                                        ; implicit-def: $vgpr1
	s_and_saveexec_b64 s[4:5], vcc
	s_xor_b64 s[4:5], exec, s[4:5]
; %bb.362:
	v_bfe_u32 v1, v0, 20, 1
	s_mov_b32 s24, 0x407ffff
	v_add3_u32 v1, v0, v1, s24
	v_lshrrev_b32_e32 v4, 20, v1
	v_and_b32_e32 v1, 0xff00000, v1
	s_mov_b32 s24, 0x7f00000
	v_mov_b32_e32 v5, 0x7e
	v_cmp_ne_u32_e32 vcc, s24, v1
	v_cndmask_b32_e32 v1, v5, v4, vcc
; %bb.363:
	s_andn2_saveexec_b64 s[4:5], s[4:5]
; %bb.364:
	s_mov_b32 s24, 0x46800000
	v_add_f32_e64 v1, |v0|, s24
; %bb.365:
	s_or_b64 exec, exec, s[4:5]
                                        ; implicit-def: $vgpr4
.LBB20_366:
	s_andn2_saveexec_b64 s[2:3], s[2:3]
; %bb.367:
	s_mov_b32 s4, 0x7f800000
	v_mov_b32_e32 v1, 0x7e
	v_mov_b32_e32 v5, 0x7f
	v_cmp_lt_u32_e32 vcc, s4, v4
	v_cndmask_b32_e32 v1, v1, v5, vcc
; %bb.368:
	s_or_b64 exec, exec, s[2:3]
	v_lshrrev_b32_e32 v4, 24, v0
	s_movk_i32 s2, 0x80
	v_and_or_b32 v1, v4, s2, v1
	global_store_byte v[2:3], v1, off
.LBB20_369:
	s_mov_b64 s[2:3], 0
.LBB20_370:
	s_andn2_b64 vcc, exec, s[2:3]
	s_cbranch_vccnz .LBB20_380
; %bb.371:
	v_and_b32_e32 v4, 0x7fffffff, v0
	s_mov_b32 s2, 0x47800000
	v_cmp_gt_u32_e32 vcc, s2, v4
                                        ; implicit-def: $vgpr1
	s_and_saveexec_b64 s[2:3], vcc
	s_xor_b64 s[2:3], exec, s[2:3]
	s_cbranch_execz .LBB20_377
; %bb.372:
	s_mov_b32 s4, 0x387fffff
	v_cmp_lt_u32_e32 vcc, s4, v4
                                        ; implicit-def: $vgpr1
	s_and_saveexec_b64 s[4:5], vcc
	s_xor_b64 s[4:5], exec, s[4:5]
; %bb.373:
	v_bfe_u32 v1, v0, 21, 1
	s_mov_b32 s24, 0x80fffff
	v_add3_u32 v1, v0, v1, s24
	v_lshrrev_b32_e32 v1, 21, v1
; %bb.374:
	s_andn2_saveexec_b64 s[4:5], s[4:5]
; %bb.375:
	s_mov_b32 s24, 0x43000000
	v_add_f32_e64 v1, |v0|, s24
; %bb.376:
	s_or_b64 exec, exec, s[4:5]
                                        ; implicit-def: $vgpr4
.LBB20_377:
	s_andn2_saveexec_b64 s[2:3], s[2:3]
; %bb.378:
	s_mov_b32 s4, 0x7f800000
	v_mov_b32_e32 v1, 0x7c
	v_mov_b32_e32 v5, 0x7f
	v_cmp_lt_u32_e32 vcc, s4, v4
	v_cndmask_b32_e32 v1, v1, v5, vcc
; %bb.379:
	s_or_b64 exec, exec, s[2:3]
	v_lshrrev_b32_e32 v4, 24, v0
	s_movk_i32 s2, 0x80
	v_and_or_b32 v1, v4, s2, v1
	global_store_byte v[2:3], v1, off
.LBB20_380:
	s_mov_b64 s[4:5], 0
	s_mov_b64 s[2:3], -1
.LBB20_381:
	s_andn2_b64 vcc, exec, s[4:5]
	s_cbranch_vccnz .LBB20_389
; %bb.382:
	v_mov_b32_e32 v1, 14
	v_cmp_gt_i16_sdwa s[24:25], v10, v1 src0_sel:BYTE_0 src1_sel:DWORD
	s_mov_b64 s[4:5], -1
	s_and_b64 vcc, exec, s[24:25]
	s_cbranch_vccz .LBB20_386
; %bb.383:
	v_mov_b32_e32 v1, 15
	v_cmp_eq_u16_sdwa s[4:5], v10, v1 src0_sel:BYTE_0 src1_sel:DWORD
	s_mov_b64 s[0:1], -1
	s_and_b64 vcc, exec, s[4:5]
	s_cbranch_vccz .LBB20_385
; %bb.384:
	v_bfe_u32 v1, v0, 16, 1
	s_movk_i32 s0, 0x7fff
	v_add3_u32 v1, v0, v1, s0
	v_lshrrev_b32_e32 v1, 16, v1
	v_mov_b32_e32 v4, 0x7fc0
	v_cmp_o_f32_e32 vcc, v0, v0
	v_cndmask_b32_e32 v1, v4, v1, vcc
	global_store_short v[2:3], v1, off
	s_mov_b64 s[2:3], -1
	s_mov_b64 s[0:1], 0
.LBB20_385:
	s_mov_b64 s[4:5], 0
.LBB20_386:
	s_and_b64 vcc, exec, s[4:5]
	s_cbranch_vccz .LBB20_389
; %bb.387:
	v_mov_b32_e32 v1, 11
	v_cmp_eq_u16_sdwa s[4:5], v10, v1 src0_sel:BYTE_0 src1_sel:DWORD
	s_mov_b64 s[0:1], -1
	s_and_b64 vcc, exec, s[4:5]
	s_cbranch_vccz .LBB20_389
; %bb.388:
	v_cmp_neq_f32_e32 vcc, 0, v0
	v_cndmask_b32_e64 v1, 0, 1, vcc
	s_mov_b64 s[2:3], -1
	s_mov_b64 s[0:1], 0
	global_store_byte v[2:3], v1, off
.LBB20_389:
	s_mov_b64 s[4:5], 0
.LBB20_390:
	s_and_b64 vcc, exec, s[4:5]
	s_cbranch_vccz .LBB20_429
; %bb.391:
	v_mov_b32_e32 v1, 5
	v_cmp_lt_i16_sdwa s[4:5], v10, v1 src0_sel:BYTE_0 src1_sel:DWORD
	s_mov_b64 s[2:3], -1
	s_and_b64 vcc, exec, s[4:5]
	s_cbranch_vccnz .LBB20_412
; %bb.392:
	v_mov_b32_e32 v1, 8
	v_cmp_lt_i16_sdwa s[4:5], v10, v1 src0_sel:BYTE_0 src1_sel:DWORD
	s_and_b64 vcc, exec, s[4:5]
	s_cbranch_vccnz .LBB20_402
; %bb.393:
	v_mov_b32_e32 v1, 9
	v_cmp_lt_i16_sdwa s[4:5], v10, v1 src0_sel:BYTE_0 src1_sel:DWORD
	s_and_b64 vcc, exec, s[4:5]
	s_cbranch_vccnz .LBB20_399
; %bb.394:
	v_cmp_gt_i16_sdwa s[4:5], v10, v1 src0_sel:BYTE_0 src1_sel:DWORD
	s_and_b64 vcc, exec, s[4:5]
	s_cbranch_vccz .LBB20_396
; %bb.395:
	v_mov_b32_e32 v6, 0
	v_cvt_f64_f32_e32 v[4:5], v0
	v_mov_b32_e32 v7, v6
	s_mov_b64 s[2:3], 0
	global_store_dwordx4 v[2:3], v[4:7], off
.LBB20_396:
	s_andn2_b64 vcc, exec, s[2:3]
	s_cbranch_vccnz .LBB20_398
; %bb.397:
	v_mov_b32_e32 v1, 0
	global_store_dwordx2 v[2:3], v[0:1], off
.LBB20_398:
	s_mov_b64 s[2:3], 0
.LBB20_399:
	s_andn2_b64 vcc, exec, s[2:3]
	s_cbranch_vccnz .LBB20_401
; %bb.400:
	v_cvt_f16_f32_e32 v1, v0
	global_store_dword v[2:3], v1, off
.LBB20_401:
	s_mov_b64 s[2:3], 0
.LBB20_402:
	s_andn2_b64 vcc, exec, s[2:3]
	s_cbranch_vccnz .LBB20_411
; %bb.403:
	v_mov_b32_e32 v1, 6
	v_cmp_lt_i16_sdwa s[4:5], v10, v1 src0_sel:BYTE_0 src1_sel:DWORD
	s_mov_b64 s[2:3], -1
	s_and_b64 vcc, exec, s[4:5]
	s_cbranch_vccnz .LBB20_409
; %bb.404:
	v_cmp_gt_i16_sdwa s[4:5], v10, v1 src0_sel:BYTE_0 src1_sel:DWORD
	s_and_b64 vcc, exec, s[4:5]
	s_cbranch_vccz .LBB20_406
; %bb.405:
	v_cvt_f64_f32_e32 v[4:5], v0
	s_mov_b64 s[2:3], 0
	global_store_dwordx2 v[2:3], v[4:5], off
.LBB20_406:
	s_andn2_b64 vcc, exec, s[2:3]
	s_cbranch_vccnz .LBB20_408
; %bb.407:
	global_store_dword v[2:3], v0, off
.LBB20_408:
	s_mov_b64 s[2:3], 0
.LBB20_409:
	s_andn2_b64 vcc, exec, s[2:3]
	s_cbranch_vccnz .LBB20_411
; %bb.410:
	v_cvt_f16_f32_e32 v1, v0
	global_store_short v[2:3], v1, off
.LBB20_411:
	s_mov_b64 s[2:3], 0
.LBB20_412:
	s_andn2_b64 vcc, exec, s[2:3]
	s_cbranch_vccnz .LBB20_428
; %bb.413:
	v_mov_b32_e32 v1, 2
	v_cmp_lt_i16_sdwa s[4:5], v10, v1 src0_sel:BYTE_0 src1_sel:DWORD
	s_mov_b64 s[2:3], -1
	s_and_b64 vcc, exec, s[4:5]
	s_cbranch_vccnz .LBB20_423
; %bb.414:
	v_mov_b32_e32 v1, 3
	v_cmp_lt_i16_sdwa s[4:5], v10, v1 src0_sel:BYTE_0 src1_sel:DWORD
	s_and_b64 vcc, exec, s[4:5]
	s_cbranch_vccnz .LBB20_420
; %bb.415:
	v_cmp_gt_i16_sdwa s[4:5], v10, v1 src0_sel:BYTE_0 src1_sel:DWORD
	s_and_b64 vcc, exec, s[4:5]
	s_cbranch_vccz .LBB20_417
; %bb.416:
	v_trunc_f32_e32 v1, v0
	s_mov_b32 s2, 0x2f800000
	v_mul_f32_e64 v4, |v1|, s2
	v_floor_f32_e32 v4, v4
	s_mov_b32 s2, 0xcf800000
	v_cvt_u32_f32_e32 v5, v4
	v_fma_f32 v4, v4, s2, |v1|
	v_cvt_u32_f32_e32 v4, v4
	v_ashrrev_i32_e32 v1, 31, v1
	v_xor_b32_e32 v5, v5, v1
	s_mov_b64 s[2:3], 0
	v_xor_b32_e32 v4, v4, v1
	v_sub_co_u32_e32 v4, vcc, v4, v1
	v_subb_co_u32_e32 v5, vcc, v5, v1, vcc
	global_store_dwordx2 v[2:3], v[4:5], off
.LBB20_417:
	s_andn2_b64 vcc, exec, s[2:3]
	s_cbranch_vccnz .LBB20_419
; %bb.418:
	v_cvt_i32_f32_e32 v1, v0
	global_store_dword v[2:3], v1, off
.LBB20_419:
	s_mov_b64 s[2:3], 0
.LBB20_420:
	s_andn2_b64 vcc, exec, s[2:3]
	s_cbranch_vccnz .LBB20_422
; %bb.421:
	v_cvt_i32_f32_e32 v1, v0
	global_store_short v[2:3], v1, off
.LBB20_422:
	s_mov_b64 s[2:3], 0
.LBB20_423:
	s_andn2_b64 vcc, exec, s[2:3]
	s_cbranch_vccnz .LBB20_428
; %bb.424:
	v_mov_b32_e32 v1, 0
	v_cmp_gt_i16_sdwa s[4:5], v10, v1 src0_sel:BYTE_0 src1_sel:DWORD
	s_mov_b64 s[2:3], -1
	s_and_b64 vcc, exec, s[4:5]
	s_cbranch_vccz .LBB20_426
; %bb.425:
	v_cvt_i32_f32_e32 v1, v0
	s_mov_b64 s[2:3], 0
	global_store_byte v[2:3], v1, off
.LBB20_426:
	s_andn2_b64 vcc, exec, s[2:3]
	s_cbranch_vccnz .LBB20_428
; %bb.427:
	v_trunc_f32_e32 v0, v0
	s_mov_b32 s2, 0x2f800000
	v_mul_f32_e64 v1, |v0|, s2
	v_floor_f32_e32 v1, v1
	s_mov_b32 s2, 0xcf800000
	v_fma_f32 v1, v1, s2, |v0|
	v_cvt_u32_f32_e32 v1, v1
	v_ashrrev_i32_e32 v0, 31, v0
	v_xor_b32_e32 v1, v1, v0
	v_sub_u32_e32 v0, v1, v0
	global_store_byte v[2:3], v0, off
.LBB20_428:
	s_mov_b64 s[2:3], -1
.LBB20_429:
	s_andn2_b64 vcc, exec, s[2:3]
	s_cbranch_vccnz .LBB20_431
; %bb.430:
	v_add_u32_e32 v9, 0x80, v9
	s_mov_b64 s[2:3], -1
	s_branch .LBB20_543
.LBB20_431:
	s_mov_b64 s[2:3], 0
                                        ; implicit-def: $vgpr9
	s_branch .LBB20_543
.LBB20_432:
	s_mov_b64 s[22:23], -1
                                        ; implicit-def: $vgpr2
.LBB20_433:
	s_mov_b64 s[2:3], 0
.LBB20_434:
	s_and_b64 vcc, exec, s[2:3]
	s_cbranch_vccz .LBB20_438
; %bb.435:
	v_cmp_eq_u16_e32 vcc, 29, v8
	s_cbranch_vccz .LBB20_437
; %bb.436:
	global_load_dwordx2 v[2:3], v[0:1], off
	s_mov_b64 s[0:1], -1
	s_mov_b64 s[22:23], 0
	s_mov_b64 s[2:3], 0
	s_waitcnt vmcnt(0)
	v_ffbh_u32_e32 v4, v3
	v_min_u32_e32 v4, 32, v4
	v_lshlrev_b64 v[2:3], v4, v[2:3]
	v_min_u32_e32 v2, 1, v2
	v_or_b32_e32 v2, v3, v2
	v_cvt_f32_u32_e32 v2, v2
	v_sub_u32_e32 v3, 32, v4
	v_ldexp_f32 v2, v2, v3
	s_branch .LBB20_439
.LBB20_437:
	s_mov_b64 s[22:23], -1
                                        ; implicit-def: $vgpr2
.LBB20_438:
	s_mov_b64 s[2:3], 0
.LBB20_439:
	s_and_b64 vcc, exec, s[2:3]
	s_cbranch_vccz .LBB20_457
; %bb.440:
	v_cmp_gt_i16_e32 vcc, 27, v8
	s_cbranch_vccnz .LBB20_443
; %bb.441:
	v_cmp_lt_i16_e32 vcc, 27, v8
	s_cbranch_vccz .LBB20_444
; %bb.442:
	global_load_dword v2, v[0:1], off
	s_mov_b64 s[0:1], 0
	s_waitcnt vmcnt(0)
	v_cvt_f32_u32_e32 v2, v2
	s_branch .LBB20_445
.LBB20_443:
	s_mov_b64 s[0:1], -1
                                        ; implicit-def: $vgpr2
	s_branch .LBB20_448
.LBB20_444:
	s_mov_b64 s[0:1], -1
                                        ; implicit-def: $vgpr2
.LBB20_445:
	s_andn2_b64 vcc, exec, s[0:1]
	s_cbranch_vccnz .LBB20_447
; %bb.446:
	global_load_ushort v2, v[0:1], off
	s_waitcnt vmcnt(0)
	v_cvt_f32_u32_e32 v2, v2
.LBB20_447:
	s_mov_b64 s[0:1], 0
.LBB20_448:
	s_andn2_b64 vcc, exec, s[0:1]
	s_cbranch_vccnz .LBB20_456
; %bb.449:
	global_load_ubyte v3, v[0:1], off
	s_movk_i32 s0, 0x7f
                                        ; implicit-def: $sgpr24
	s_waitcnt vmcnt(0)
	v_cmp_lt_i16_e32 vcc, s0, v3
	s_mov_b64 s[0:1], 0
	s_and_saveexec_b64 s[2:3], vcc
	s_xor_b64 s[2:3], exec, s[2:3]
	s_cbranch_execz .LBB20_470
; %bb.450:
	s_movk_i32 s0, 0x80
	v_cmp_eq_u16_e32 vcc, s0, v3
	s_mov_b64 s[0:1], -1
                                        ; implicit-def: $sgpr24
	s_and_saveexec_b64 s[4:5], vcc
; %bb.451:
	s_mov_b32 s24, 0x7f800001
	s_xor_b64 s[0:1], exec, -1
; %bb.452:
	s_or_b64 exec, exec, s[4:5]
	s_and_b64 s[0:1], s[0:1], exec
	s_or_saveexec_b64 s[2:3], s[2:3]
	v_mov_b32_e32 v2, s24
	s_xor_b64 exec, exec, s[2:3]
	s_cbranch_execnz .LBB20_471
.LBB20_453:
	s_or_b64 exec, exec, s[2:3]
	s_and_saveexec_b64 s[2:3], s[0:1]
	s_cbranch_execz .LBB20_455
.LBB20_454:
	v_lshlrev_b32_e32 v2, 24, v3
	v_and_b32_e32 v3, 0xffff, v3
	v_and_b32_e32 v4, 7, v3
	v_ffbh_u32_e32 v6, v4
	v_min_u32_e32 v6, 32, v6
	v_subrev_u32_e32 v7, 28, v6
	v_bfe_u32 v5, v3, 3, 4
	v_lshlrev_b32_e32 v3, v7, v3
	v_sub_u32_e32 v6, 29, v6
	v_and_b32_e32 v3, 7, v3
	v_cmp_eq_u32_e32 vcc, 0, v5
	v_cndmask_b32_e32 v5, v5, v6, vcc
	v_cndmask_b32_e32 v3, v4, v3, vcc
	v_mov_b32_e32 v4, 0x3b800000
	v_lshlrev_b32_e32 v3, 20, v3
	v_and_b32_e32 v2, 0x80000000, v2
	v_lshl_add_u32 v4, v5, 23, v4
	v_or3_b32 v2, v2, v4, v3
.LBB20_455:
	s_or_b64 exec, exec, s[2:3]
.LBB20_456:
	s_mov_b64 s[0:1], -1
.LBB20_457:
	s_mov_b64 s[2:3], 0
.LBB20_458:
	s_and_b64 vcc, exec, s[2:3]
	s_cbranch_vccz .LBB20_493
; %bb.459:
	v_cmp_lt_i16_e32 vcc, 22, v8
	s_cbranch_vccz .LBB20_469
; %bb.460:
	v_cmp_gt_i16_e32 vcc, 24, v8
	s_cbranch_vccnz .LBB20_472
; %bb.461:
	v_cmp_lt_i16_e32 vcc, 24, v8
	s_cbranch_vccz .LBB20_473
; %bb.462:
	global_load_ubyte v3, v[0:1], off
	s_movk_i32 s0, 0x7f
                                        ; implicit-def: $sgpr24
	s_waitcnt vmcnt(0)
	v_cmp_lt_i16_e32 vcc, s0, v3
	s_mov_b64 s[0:1], 0
	s_and_saveexec_b64 s[2:3], vcc
	s_xor_b64 s[2:3], exec, s[2:3]
	s_cbranch_execz .LBB20_485
; %bb.463:
	s_movk_i32 s0, 0x80
	v_cmp_eq_u16_e32 vcc, s0, v3
	s_mov_b64 s[0:1], -1
                                        ; implicit-def: $sgpr24
	s_and_saveexec_b64 s[4:5], vcc
; %bb.464:
	s_mov_b32 s24, 0x7f800001
	s_xor_b64 s[0:1], exec, -1
; %bb.465:
	s_or_b64 exec, exec, s[4:5]
	s_and_b64 s[0:1], s[0:1], exec
	s_or_saveexec_b64 s[2:3], s[2:3]
	v_mov_b32_e32 v2, s24
	s_xor_b64 exec, exec, s[2:3]
	s_cbranch_execnz .LBB20_486
.LBB20_466:
	s_or_b64 exec, exec, s[2:3]
	s_and_saveexec_b64 s[2:3], s[0:1]
	s_cbranch_execz .LBB20_468
.LBB20_467:
	v_lshlrev_b32_e32 v2, 24, v3
	v_and_b32_e32 v3, 0xffff, v3
	v_and_b32_e32 v4, 3, v3
	v_ffbh_u32_e32 v6, v4
	v_min_u32_e32 v6, 32, v6
	v_subrev_u32_e32 v7, 29, v6
	v_bfe_u32 v5, v3, 2, 5
	v_lshlrev_b32_e32 v3, v7, v3
	v_sub_u32_e32 v6, 30, v6
	v_and_b32_e32 v3, 3, v3
	v_cmp_eq_u32_e32 vcc, 0, v5
	v_cndmask_b32_e32 v5, v5, v6, vcc
	v_cndmask_b32_e32 v3, v4, v3, vcc
	v_mov_b32_e32 v4, 0x37800000
	v_lshlrev_b32_e32 v3, 21, v3
	v_and_b32_e32 v2, 0x80000000, v2
	v_lshl_add_u32 v4, v5, 23, v4
	v_or3_b32 v2, v2, v4, v3
.LBB20_468:
	s_or_b64 exec, exec, s[2:3]
	s_mov_b64 s[0:1], 0
	s_branch .LBB20_474
.LBB20_469:
	s_mov_b64 s[2:3], -1
                                        ; implicit-def: $vgpr2
	s_branch .LBB20_480
.LBB20_470:
	s_or_saveexec_b64 s[2:3], s[2:3]
	v_mov_b32_e32 v2, s24
	s_xor_b64 exec, exec, s[2:3]
	s_cbranch_execz .LBB20_453
.LBB20_471:
	v_cmp_ne_u16_e32 vcc, 0, v3
	s_andn2_b64 s[0:1], s[0:1], exec
	s_and_b64 s[4:5], vcc, exec
	v_mov_b32_e32 v2, 0
	s_or_b64 s[0:1], s[0:1], s[4:5]
	s_or_b64 exec, exec, s[2:3]
	s_and_saveexec_b64 s[2:3], s[0:1]
	s_cbranch_execnz .LBB20_454
	s_branch .LBB20_455
.LBB20_472:
	s_mov_b64 s[0:1], -1
                                        ; implicit-def: $vgpr2
	s_branch .LBB20_477
.LBB20_473:
	s_mov_b64 s[0:1], -1
                                        ; implicit-def: $vgpr2
.LBB20_474:
	s_and_b64 vcc, exec, s[0:1]
	s_cbranch_vccz .LBB20_476
; %bb.475:
	global_load_ubyte v2, v[0:1], off
	s_mov_b32 s0, 0x7f800000
	s_waitcnt vmcnt(0)
	v_lshlrev_b32_e32 v2, 24, v2
	v_and_b32_e32 v3, 0x7f000000, v2
	v_ffbh_u32_e32 v4, v3
	v_min_u32_e32 v4, 32, v4
	v_sub_u32_e64 v4, v4, 4 clamp
	v_lshlrev_b32_e32 v6, v4, v3
	v_lshlrev_b32_e32 v4, 23, v4
	v_lshrrev_b32_e32 v6, 4, v6
	v_add_u32_e32 v5, 0x1000000, v3
	v_sub_u32_e32 v4, v6, v4
	v_ashrrev_i32_e32 v5, 8, v5
	v_add_u32_e32 v4, 0x3c000000, v4
	v_and_or_b32 v4, v5, s0, v4
	v_cmp_ne_u32_e32 vcc, 0, v3
	v_cndmask_b32_e32 v3, 0, v4, vcc
	s_brev_b32 s0, 1
	v_and_or_b32 v2, v2, s0, v3
.LBB20_476:
	s_mov_b64 s[0:1], 0
.LBB20_477:
	s_andn2_b64 vcc, exec, s[0:1]
	s_cbranch_vccnz .LBB20_479
; %bb.478:
	global_load_ubyte v2, v[0:1], off
	s_movk_i32 s0, 0x7f00
	s_brev_b32 s1, 16
	s_waitcnt vmcnt(0)
	v_lshlrev_b16_e32 v3, 8, v2
	v_lshlrev_b32_e32 v2, 25, v2
	v_lshrrev_b32_e32 v4, 4, v2
	v_and_or_b32 v5, v3, s0, 0.5
	v_or_b32_e32 v4, 0x70000000, v4
	v_add_f32_e32 v5, -0.5, v5
	v_mul_f32_e32 v4, 0x7800000, v4
	v_cmp_gt_u32_e32 vcc, s1, v2
	v_bfe_i32 v3, v3, 0, 16
	v_cndmask_b32_e32 v2, v4, v5, vcc
	s_brev_b32 s0, 1
	v_and_or_b32 v2, v3, s0, v2
.LBB20_479:
	s_mov_b64 s[2:3], 0
	s_mov_b64 s[0:1], -1
.LBB20_480:
	s_andn2_b64 vcc, exec, s[2:3]
	s_cbranch_vccnz .LBB20_493
; %bb.481:
	v_cmp_lt_i16_e32 vcc, 14, v8
	s_cbranch_vccz .LBB20_484
; %bb.482:
	v_cmp_eq_u16_e32 vcc, 15, v8
	s_cbranch_vccz .LBB20_487
; %bb.483:
	global_load_ushort v2, v[0:1], off
	s_mov_b64 s[0:1], -1
	s_mov_b64 s[22:23], 0
	s_waitcnt vmcnt(0)
	v_lshlrev_b32_e32 v2, 16, v2
	s_branch .LBB20_488
.LBB20_484:
	s_mov_b64 s[2:3], -1
                                        ; implicit-def: $vgpr2
	s_branch .LBB20_489
.LBB20_485:
	s_or_saveexec_b64 s[2:3], s[2:3]
	v_mov_b32_e32 v2, s24
	s_xor_b64 exec, exec, s[2:3]
	s_cbranch_execz .LBB20_466
.LBB20_486:
	v_cmp_ne_u16_e32 vcc, 0, v3
	s_andn2_b64 s[0:1], s[0:1], exec
	s_and_b64 s[4:5], vcc, exec
	v_mov_b32_e32 v2, 0
	s_or_b64 s[0:1], s[0:1], s[4:5]
	s_or_b64 exec, exec, s[2:3]
	s_and_saveexec_b64 s[2:3], s[0:1]
	s_cbranch_execnz .LBB20_467
	s_branch .LBB20_468
.LBB20_487:
	s_mov_b64 s[22:23], -1
                                        ; implicit-def: $vgpr2
.LBB20_488:
	s_mov_b64 s[2:3], 0
.LBB20_489:
	s_and_b64 vcc, exec, s[2:3]
	s_cbranch_vccz .LBB20_493
; %bb.490:
	v_cmp_eq_u16_e32 vcc, 11, v8
	s_cbranch_vccz .LBB20_492
; %bb.491:
	global_load_ubyte v2, v[0:1], off
	s_mov_b64 s[0:1], -1
	s_mov_b64 s[22:23], 0
	s_waitcnt vmcnt(0)
	v_cmp_ne_u16_e32 vcc, 0, v2
	v_cndmask_b32_e64 v2, 0, 1.0, vcc
	s_branch .LBB20_493
.LBB20_492:
	s_mov_b64 s[22:23], -1
                                        ; implicit-def: $vgpr2
.LBB20_493:
	s_branch .LBB20_280
.LBB20_494:
	v_cmp_gt_i16_e32 vcc, 5, v8
	s_cbranch_vccnz .LBB20_499
; %bb.495:
	v_cmp_gt_i16_e32 vcc, 8, v8
	s_cbranch_vccnz .LBB20_500
; %bb.496:
	;; [unrolled: 3-line block ×3, first 2 shown]
	v_cmp_lt_i16_e32 vcc, 9, v8
	s_cbranch_vccz .LBB20_502
; %bb.498:
	global_load_dwordx2 v[2:3], v[0:1], off
	s_mov_b64 s[0:1], 0
	s_waitcnt vmcnt(0)
	v_cvt_f32_f64_e32 v2, v[2:3]
	s_branch .LBB20_503
.LBB20_499:
	s_mov_b64 s[0:1], -1
                                        ; implicit-def: $vgpr2
	s_branch .LBB20_521
.LBB20_500:
	s_mov_b64 s[0:1], -1
                                        ; implicit-def: $vgpr2
	s_branch .LBB20_509
.LBB20_501:
	s_mov_b64 s[0:1], -1
                                        ; implicit-def: $vgpr2
	s_branch .LBB20_506
.LBB20_502:
	s_mov_b64 s[0:1], -1
                                        ; implicit-def: $vgpr2
.LBB20_503:
	s_andn2_b64 vcc, exec, s[0:1]
	s_cbranch_vccnz .LBB20_505
; %bb.504:
	global_load_dword v2, v[0:1], off
.LBB20_505:
	s_mov_b64 s[0:1], 0
.LBB20_506:
	s_andn2_b64 vcc, exec, s[0:1]
	s_cbranch_vccnz .LBB20_508
; %bb.507:
	global_load_dword v2, v[0:1], off
	s_waitcnt vmcnt(0)
	v_cvt_f32_f16_e32 v2, v2
.LBB20_508:
	s_mov_b64 s[0:1], 0
.LBB20_509:
	s_andn2_b64 vcc, exec, s[0:1]
	s_cbranch_vccnz .LBB20_520
; %bb.510:
	v_cmp_gt_i16_e32 vcc, 6, v8
	s_cbranch_vccnz .LBB20_513
; %bb.511:
	v_cmp_lt_i16_e32 vcc, 6, v8
	s_cbranch_vccz .LBB20_514
; %bb.512:
	global_load_dwordx2 v[2:3], v[0:1], off
	s_mov_b64 s[0:1], 0
	s_waitcnt vmcnt(0)
	v_cvt_f32_f64_e32 v2, v[2:3]
	s_branch .LBB20_515
.LBB20_513:
	s_mov_b64 s[0:1], -1
                                        ; implicit-def: $vgpr2
	s_branch .LBB20_518
.LBB20_514:
	s_mov_b64 s[0:1], -1
                                        ; implicit-def: $vgpr2
.LBB20_515:
	s_andn2_b64 vcc, exec, s[0:1]
	s_cbranch_vccnz .LBB20_517
; %bb.516:
	global_load_dword v2, v[0:1], off
.LBB20_517:
	s_mov_b64 s[0:1], 0
.LBB20_518:
	s_andn2_b64 vcc, exec, s[0:1]
	s_cbranch_vccnz .LBB20_520
; %bb.519:
	global_load_ushort v2, v[0:1], off
	s_waitcnt vmcnt(0)
	v_cvt_f32_f16_e32 v2, v2
.LBB20_520:
	s_mov_b64 s[0:1], 0
.LBB20_521:
	s_andn2_b64 vcc, exec, s[0:1]
	s_cbranch_vccnz .LBB20_541
; %bb.522:
	v_cmp_gt_i16_e32 vcc, 2, v8
	s_cbranch_vccnz .LBB20_526
; %bb.523:
	v_cmp_gt_i16_e32 vcc, 3, v8
	s_cbranch_vccnz .LBB20_527
; %bb.524:
	v_cmp_lt_i16_e32 vcc, 3, v8
	s_cbranch_vccz .LBB20_528
; %bb.525:
	global_load_dwordx2 v[2:3], v[0:1], off
	s_mov_b64 s[0:1], 0
	s_waitcnt vmcnt(0)
	v_xor_b32_e32 v5, v2, v3
	v_ffbh_i32_e32 v4, v3
	v_ashrrev_i32_e32 v5, 31, v5
	v_add_u32_e32 v4, -1, v4
	v_add_u32_e32 v5, 32, v5
	v_min_u32_e32 v4, v4, v5
	v_lshlrev_b64 v[2:3], v4, v[2:3]
	v_min_u32_e32 v2, 1, v2
	v_or_b32_e32 v2, v3, v2
	v_cvt_f32_i32_e32 v2, v2
	v_sub_u32_e32 v3, 32, v4
	v_ldexp_f32 v2, v2, v3
	s_branch .LBB20_529
.LBB20_526:
	s_mov_b64 s[0:1], -1
                                        ; implicit-def: $vgpr2
	s_branch .LBB20_535
.LBB20_527:
	s_mov_b64 s[0:1], -1
                                        ; implicit-def: $vgpr2
	s_branch .LBB20_532
.LBB20_528:
	s_mov_b64 s[0:1], -1
                                        ; implicit-def: $vgpr2
.LBB20_529:
	s_andn2_b64 vcc, exec, s[0:1]
	s_cbranch_vccnz .LBB20_531
; %bb.530:
	global_load_dword v2, v[0:1], off
	s_waitcnt vmcnt(0)
	v_cvt_f32_i32_e32 v2, v2
.LBB20_531:
	s_mov_b64 s[0:1], 0
.LBB20_532:
	s_andn2_b64 vcc, exec, s[0:1]
	s_cbranch_vccnz .LBB20_534
; %bb.533:
	global_load_sshort v2, v[0:1], off
	s_waitcnt vmcnt(0)
	v_cvt_f32_i32_e32 v2, v2
.LBB20_534:
	s_mov_b64 s[0:1], 0
.LBB20_535:
	s_andn2_b64 vcc, exec, s[0:1]
	s_cbranch_vccnz .LBB20_541
; %bb.536:
	v_cmp_lt_i16_e32 vcc, 0, v8
	s_cbranch_vccz .LBB20_538
; %bb.537:
	global_load_sbyte v2, v[0:1], off
	s_mov_b64 s[0:1], 0
	s_waitcnt vmcnt(0)
	v_cvt_f32_i32_e32 v2, v2
	s_branch .LBB20_539
.LBB20_538:
	s_mov_b64 s[0:1], -1
                                        ; implicit-def: $vgpr2
.LBB20_539:
	s_andn2_b64 vcc, exec, s[0:1]
	s_cbranch_vccnz .LBB20_541
; %bb.540:
	global_load_ubyte v0, v[0:1], off
	s_waitcnt vmcnt(0)
	v_cvt_f32_ubyte0_e32 v2, v0
.LBB20_541:
	s_branch .LBB20_281
.LBB20_542:
	s_mov_b64 s[2:3], 0
                                        ; implicit-def: $vgpr9
	s_mov_b64 s[0:1], s[16:17]
.LBB20_543:
	s_andn2_b64 s[4:5], s[16:17], exec
	s_and_b64 s[0:1], s[0:1], exec
	s_or_b64 s[24:25], s[4:5], s[0:1]
	s_andn2_b64 s[0:1], s[18:19], exec
	s_and_b64 s[4:5], s[22:23], exec
	s_or_b64 s[22:23], s[0:1], s[4:5]
	s_orn2_b64 s[0:1], s[2:3], exec
.LBB20_544:
	s_or_b64 exec, exec, s[26:27]
	s_mov_b64 s[2:3], 0
	s_mov_b64 s[4:5], 0
	;; [unrolled: 1-line block ×3, first 2 shown]
                                        ; implicit-def: $vgpr0_vgpr1
                                        ; implicit-def: $vgpr5
	s_and_saveexec_b64 s[26:27], s[0:1]
	s_cbranch_execz .LBB20_905
; %bb.545:
	v_cmp_gt_i32_e32 vcc, s33, v9
	s_mov_b64 s[34:35], -1
	s_mov_b64 s[0:1], s[22:23]
	s_mov_b64 s[2:3], s[24:25]
	s_and_saveexec_b64 s[28:29], vcc
	s_cbranch_execz .LBB20_819
; %bb.546:
	v_mul_lo_u32 v0, v9, s13
	v_ashrrev_i32_e32 v1, 31, v0
	s_waitcnt vmcnt(0)
	v_mov_b32_e32 v2, s11
	v_add_co_u32_e32 v0, vcc, s10, v0
	v_addc_co_u32_e32 v1, vcc, v2, v1, vcc
	v_cmp_gt_i16_e32 vcc, 11, v8
	s_cbranch_vccnz .LBB20_553
; %bb.547:
	v_cmp_lt_i16_e32 vcc, 25, v8
	s_cbranch_vccz .LBB20_554
; %bb.548:
	v_cmp_lt_i16_e32 vcc, 28, v8
	s_cbranch_vccz .LBB20_555
	;; [unrolled: 3-line block ×4, first 2 shown]
; %bb.551:
	v_cmp_eq_u16_e32 vcc, 46, v8
	s_mov_b64 s[2:3], 0
	s_cbranch_vccz .LBB20_562
; %bb.552:
	global_load_dword v2, v[0:1], off
	s_mov_b64 s[0:1], -1
	s_mov_b64 s[30:31], 0
	s_waitcnt vmcnt(0)
	v_lshlrev_b32_e32 v2, 16, v2
	s_branch .LBB20_563
.LBB20_553:
	s_mov_b64 s[2:3], -1
	s_mov_b64 s[0:1], 0
                                        ; implicit-def: $vgpr2
	s_mov_b64 s[30:31], s[22:23]
	s_branch .LBB20_628
.LBB20_554:
	s_mov_b64 s[2:3], -1
	s_mov_b64 s[0:1], 0
	s_mov_b64 s[30:31], s[22:23]
                                        ; implicit-def: $vgpr2
	s_branch .LBB20_592
.LBB20_555:
	s_mov_b64 s[2:3], -1
	s_mov_b64 s[0:1], 0
	s_mov_b64 s[30:31], s[22:23]
                                        ; implicit-def: $vgpr2
	s_branch .LBB20_573
.LBB20_556:
	s_mov_b64 s[2:3], -1
	s_mov_b64 s[0:1], 0
	s_mov_b64 s[30:31], s[22:23]
                                        ; implicit-def: $vgpr2
	s_branch .LBB20_568
.LBB20_557:
	s_or_saveexec_b64 s[24:25], s[24:25]
                                        ; implicit-def: $sgpr28
	s_xor_b64 exec, exec, s[24:25]
	s_cbranch_execz .LBB20_342
.LBB20_558:
	s_mov_b32 s28, 0x46000000
	v_add_f32_e64 v1, |v0|, s28
	v_and_b32_e32 v1, 0xff, v1
	v_cmp_ne_u32_e32 vcc, 0, v1
	s_andn2_b64 s[4:5], s[4:5], exec
	s_and_b64 s[30:31], vcc, exec
	s_mov_b32 s28, 0
	s_or_b64 s[4:5], s[4:5], s[30:31]
	s_or_b64 exec, exec, s[24:25]
	v_mov_b32_e32 v4, s28
	s_and_saveexec_b64 s[24:25], s[4:5]
	s_cbranch_execnz .LBB20_343
	s_branch .LBB20_344
.LBB20_559:
	s_mov_b64 s[2:3], -1
	s_mov_b64 s[0:1], 0
	s_mov_b64 s[30:31], s[22:23]
                                        ; implicit-def: $vgpr2
	s_branch .LBB20_563
.LBB20_560:
	s_or_saveexec_b64 s[24:25], s[24:25]
                                        ; implicit-def: $sgpr28
	s_xor_b64 exec, exec, s[24:25]
	s_cbranch_execz .LBB20_355
.LBB20_561:
	s_mov_b32 s28, 0x42800000
	v_add_f32_e64 v1, |v0|, s28
	v_and_b32_e32 v1, 0xff, v1
	v_cmp_ne_u32_e32 vcc, 0, v1
	s_andn2_b64 s[4:5], s[4:5], exec
	s_and_b64 s[30:31], vcc, exec
	s_mov_b32 s28, 0
	s_or_b64 s[4:5], s[4:5], s[30:31]
	s_or_b64 exec, exec, s[24:25]
	v_mov_b32_e32 v4, s28
	s_and_saveexec_b64 s[24:25], s[4:5]
	s_cbranch_execnz .LBB20_356
	s_branch .LBB20_357
.LBB20_562:
	s_mov_b64 s[30:31], -1
                                        ; implicit-def: $vgpr2
	s_mov_b64 s[0:1], 0
.LBB20_563:
	s_and_b64 vcc, exec, s[2:3]
	s_cbranch_vccz .LBB20_567
; %bb.564:
	v_cmp_eq_u16_e32 vcc, 44, v8
	s_cbranch_vccz .LBB20_566
; %bb.565:
	global_load_ubyte v2, v[0:1], off
	s_movk_i32 s2, 0xff
	v_mov_b32_e32 v3, 0x7f800001
	v_mov_b32_e32 v4, 0x400000
	s_mov_b64 s[0:1], -1
	s_mov_b64 s[30:31], 0
	s_waitcnt vmcnt(0)
	v_lshlrev_b32_e32 v5, 23, v2
	v_cmp_ne_u32_e32 vcc, s2, v2
	v_cndmask_b32_e32 v3, v3, v5, vcc
	v_cmp_ne_u32_e32 vcc, 0, v2
	v_cndmask_b32_e32 v2, v4, v3, vcc
	s_branch .LBB20_567
.LBB20_566:
	s_mov_b64 s[30:31], -1
                                        ; implicit-def: $vgpr2
.LBB20_567:
	s_mov_b64 s[2:3], 0
.LBB20_568:
	s_and_b64 vcc, exec, s[2:3]
	s_cbranch_vccz .LBB20_572
; %bb.569:
	v_cmp_eq_u16_e32 vcc, 29, v8
	s_cbranch_vccz .LBB20_571
; %bb.570:
	global_load_dwordx2 v[2:3], v[0:1], off
	s_mov_b64 s[0:1], -1
	s_mov_b64 s[30:31], 0
	s_mov_b64 s[2:3], 0
	s_waitcnt vmcnt(0)
	v_ffbh_u32_e32 v4, v3
	v_min_u32_e32 v4, 32, v4
	v_lshlrev_b64 v[2:3], v4, v[2:3]
	v_min_u32_e32 v2, 1, v2
	v_or_b32_e32 v2, v3, v2
	v_cvt_f32_u32_e32 v2, v2
	v_sub_u32_e32 v3, 32, v4
	v_ldexp_f32 v2, v2, v3
	s_branch .LBB20_573
.LBB20_571:
	s_mov_b64 s[30:31], -1
                                        ; implicit-def: $vgpr2
.LBB20_572:
	s_mov_b64 s[2:3], 0
.LBB20_573:
	s_and_b64 vcc, exec, s[2:3]
	s_cbranch_vccz .LBB20_591
; %bb.574:
	v_cmp_gt_i16_e32 vcc, 27, v8
	s_cbranch_vccnz .LBB20_577
; %bb.575:
	v_cmp_lt_i16_e32 vcc, 27, v8
	s_cbranch_vccz .LBB20_578
; %bb.576:
	global_load_dword v2, v[0:1], off
	s_mov_b64 s[0:1], 0
	s_waitcnt vmcnt(0)
	v_cvt_f32_u32_e32 v2, v2
	s_branch .LBB20_579
.LBB20_577:
	s_mov_b64 s[0:1], -1
                                        ; implicit-def: $vgpr2
	s_branch .LBB20_582
.LBB20_578:
	s_mov_b64 s[0:1], -1
                                        ; implicit-def: $vgpr2
.LBB20_579:
	s_andn2_b64 vcc, exec, s[0:1]
	s_cbranch_vccnz .LBB20_581
; %bb.580:
	global_load_ushort v2, v[0:1], off
	s_waitcnt vmcnt(0)
	v_cvt_f32_u32_e32 v2, v2
.LBB20_581:
	s_mov_b64 s[0:1], 0
.LBB20_582:
	s_andn2_b64 vcc, exec, s[0:1]
	s_cbranch_vccnz .LBB20_590
; %bb.583:
	global_load_ubyte v3, v[0:1], off
	s_movk_i32 s0, 0x7f
                                        ; implicit-def: $sgpr34
	s_waitcnt vmcnt(0)
	v_cmp_lt_i16_e32 vcc, s0, v3
	s_mov_b64 s[0:1], 0
	s_and_saveexec_b64 s[2:3], vcc
	s_xor_b64 s[2:3], exec, s[2:3]
	s_cbranch_execz .LBB20_604
; %bb.584:
	s_movk_i32 s0, 0x80
	v_cmp_eq_u16_e32 vcc, s0, v3
	s_mov_b64 s[0:1], -1
                                        ; implicit-def: $sgpr34
	s_and_saveexec_b64 s[4:5], vcc
; %bb.585:
	s_mov_b32 s34, 0x7f800001
	s_xor_b64 s[0:1], exec, -1
; %bb.586:
	s_or_b64 exec, exec, s[4:5]
	s_and_b64 s[0:1], s[0:1], exec
	s_or_saveexec_b64 s[2:3], s[2:3]
	v_mov_b32_e32 v2, s34
	s_xor_b64 exec, exec, s[2:3]
	s_cbranch_execnz .LBB20_605
.LBB20_587:
	s_or_b64 exec, exec, s[2:3]
	s_and_saveexec_b64 s[2:3], s[0:1]
	s_cbranch_execz .LBB20_589
.LBB20_588:
	v_lshlrev_b32_e32 v2, 24, v3
	v_and_b32_e32 v3, 0xffff, v3
	v_and_b32_e32 v4, 7, v3
	v_ffbh_u32_e32 v6, v4
	v_min_u32_e32 v6, 32, v6
	v_subrev_u32_e32 v7, 28, v6
	v_bfe_u32 v5, v3, 3, 4
	v_lshlrev_b32_e32 v3, v7, v3
	v_sub_u32_e32 v6, 29, v6
	v_and_b32_e32 v3, 7, v3
	v_cmp_eq_u32_e32 vcc, 0, v5
	v_cndmask_b32_e32 v5, v5, v6, vcc
	v_cndmask_b32_e32 v3, v4, v3, vcc
	v_mov_b32_e32 v4, 0x3b800000
	v_lshlrev_b32_e32 v3, 20, v3
	v_and_b32_e32 v2, 0x80000000, v2
	v_lshl_add_u32 v4, v5, 23, v4
	v_or3_b32 v2, v2, v4, v3
.LBB20_589:
	s_or_b64 exec, exec, s[2:3]
.LBB20_590:
	s_mov_b64 s[0:1], -1
.LBB20_591:
	s_mov_b64 s[2:3], 0
.LBB20_592:
	s_and_b64 vcc, exec, s[2:3]
	s_cbranch_vccz .LBB20_627
; %bb.593:
	v_cmp_lt_i16_e32 vcc, 22, v8
	s_cbranch_vccz .LBB20_603
; %bb.594:
	v_cmp_gt_i16_e32 vcc, 24, v8
	s_cbranch_vccnz .LBB20_606
; %bb.595:
	v_cmp_lt_i16_e32 vcc, 24, v8
	s_cbranch_vccz .LBB20_607
; %bb.596:
	global_load_ubyte v3, v[0:1], off
	s_movk_i32 s0, 0x7f
                                        ; implicit-def: $sgpr34
	s_waitcnt vmcnt(0)
	v_cmp_lt_i16_e32 vcc, s0, v3
	s_mov_b64 s[0:1], 0
	s_and_saveexec_b64 s[2:3], vcc
	s_xor_b64 s[2:3], exec, s[2:3]
	s_cbranch_execz .LBB20_619
; %bb.597:
	s_movk_i32 s0, 0x80
	v_cmp_eq_u16_e32 vcc, s0, v3
	s_mov_b64 s[0:1], -1
                                        ; implicit-def: $sgpr34
	s_and_saveexec_b64 s[4:5], vcc
; %bb.598:
	s_mov_b32 s34, 0x7f800001
	s_xor_b64 s[0:1], exec, -1
; %bb.599:
	s_or_b64 exec, exec, s[4:5]
	s_and_b64 s[0:1], s[0:1], exec
	s_or_saveexec_b64 s[2:3], s[2:3]
	v_mov_b32_e32 v2, s34
	s_xor_b64 exec, exec, s[2:3]
	s_cbranch_execnz .LBB20_620
.LBB20_600:
	s_or_b64 exec, exec, s[2:3]
	s_and_saveexec_b64 s[2:3], s[0:1]
	s_cbranch_execz .LBB20_602
.LBB20_601:
	v_lshlrev_b32_e32 v2, 24, v3
	v_and_b32_e32 v3, 0xffff, v3
	v_and_b32_e32 v4, 3, v3
	v_ffbh_u32_e32 v6, v4
	v_min_u32_e32 v6, 32, v6
	v_subrev_u32_e32 v7, 29, v6
	v_bfe_u32 v5, v3, 2, 5
	v_lshlrev_b32_e32 v3, v7, v3
	v_sub_u32_e32 v6, 30, v6
	v_and_b32_e32 v3, 3, v3
	v_cmp_eq_u32_e32 vcc, 0, v5
	v_cndmask_b32_e32 v5, v5, v6, vcc
	v_cndmask_b32_e32 v3, v4, v3, vcc
	v_mov_b32_e32 v4, 0x37800000
	v_lshlrev_b32_e32 v3, 21, v3
	v_and_b32_e32 v2, 0x80000000, v2
	v_lshl_add_u32 v4, v5, 23, v4
	v_or3_b32 v2, v2, v4, v3
.LBB20_602:
	s_or_b64 exec, exec, s[2:3]
	s_mov_b64 s[0:1], 0
	s_branch .LBB20_608
.LBB20_603:
	s_mov_b64 s[2:3], -1
                                        ; implicit-def: $vgpr2
	s_branch .LBB20_614
.LBB20_604:
	s_or_saveexec_b64 s[2:3], s[2:3]
	v_mov_b32_e32 v2, s34
	s_xor_b64 exec, exec, s[2:3]
	s_cbranch_execz .LBB20_587
.LBB20_605:
	v_cmp_ne_u16_e32 vcc, 0, v3
	s_andn2_b64 s[0:1], s[0:1], exec
	s_and_b64 s[4:5], vcc, exec
	v_mov_b32_e32 v2, 0
	s_or_b64 s[0:1], s[0:1], s[4:5]
	s_or_b64 exec, exec, s[2:3]
	s_and_saveexec_b64 s[2:3], s[0:1]
	s_cbranch_execnz .LBB20_588
	s_branch .LBB20_589
.LBB20_606:
	s_mov_b64 s[0:1], -1
                                        ; implicit-def: $vgpr2
	s_branch .LBB20_611
.LBB20_607:
	s_mov_b64 s[0:1], -1
                                        ; implicit-def: $vgpr2
.LBB20_608:
	s_and_b64 vcc, exec, s[0:1]
	s_cbranch_vccz .LBB20_610
; %bb.609:
	global_load_ubyte v2, v[0:1], off
	s_mov_b32 s0, 0x7f800000
	s_waitcnt vmcnt(0)
	v_lshlrev_b32_e32 v2, 24, v2
	v_and_b32_e32 v3, 0x7f000000, v2
	v_ffbh_u32_e32 v4, v3
	v_min_u32_e32 v4, 32, v4
	v_sub_u32_e64 v4, v4, 4 clamp
	v_lshlrev_b32_e32 v6, v4, v3
	v_lshlrev_b32_e32 v4, 23, v4
	v_lshrrev_b32_e32 v6, 4, v6
	v_add_u32_e32 v5, 0x1000000, v3
	v_sub_u32_e32 v4, v6, v4
	v_ashrrev_i32_e32 v5, 8, v5
	v_add_u32_e32 v4, 0x3c000000, v4
	v_and_or_b32 v4, v5, s0, v4
	v_cmp_ne_u32_e32 vcc, 0, v3
	v_cndmask_b32_e32 v3, 0, v4, vcc
	s_brev_b32 s0, 1
	v_and_or_b32 v2, v2, s0, v3
.LBB20_610:
	s_mov_b64 s[0:1], 0
.LBB20_611:
	s_andn2_b64 vcc, exec, s[0:1]
	s_cbranch_vccnz .LBB20_613
; %bb.612:
	global_load_ubyte v2, v[0:1], off
	s_movk_i32 s0, 0x7f00
	s_brev_b32 s1, 16
	s_waitcnt vmcnt(0)
	v_lshlrev_b16_e32 v3, 8, v2
	v_lshlrev_b32_e32 v2, 25, v2
	v_lshrrev_b32_e32 v4, 4, v2
	v_and_or_b32 v5, v3, s0, 0.5
	v_or_b32_e32 v4, 0x70000000, v4
	v_add_f32_e32 v5, -0.5, v5
	v_mul_f32_e32 v4, 0x7800000, v4
	v_cmp_gt_u32_e32 vcc, s1, v2
	v_bfe_i32 v3, v3, 0, 16
	v_cndmask_b32_e32 v2, v4, v5, vcc
	s_brev_b32 s0, 1
	v_and_or_b32 v2, v3, s0, v2
.LBB20_613:
	s_mov_b64 s[2:3], 0
	s_mov_b64 s[0:1], -1
.LBB20_614:
	s_andn2_b64 vcc, exec, s[2:3]
	s_cbranch_vccnz .LBB20_627
; %bb.615:
	v_cmp_lt_i16_e32 vcc, 14, v8
	s_cbranch_vccz .LBB20_618
; %bb.616:
	v_cmp_eq_u16_e32 vcc, 15, v8
	s_cbranch_vccz .LBB20_621
; %bb.617:
	global_load_ushort v2, v[0:1], off
	s_mov_b64 s[0:1], -1
	s_mov_b64 s[30:31], 0
	s_waitcnt vmcnt(0)
	v_lshlrev_b32_e32 v2, 16, v2
	s_branch .LBB20_622
.LBB20_618:
	s_mov_b64 s[2:3], -1
                                        ; implicit-def: $vgpr2
	s_branch .LBB20_623
.LBB20_619:
	s_or_saveexec_b64 s[2:3], s[2:3]
	v_mov_b32_e32 v2, s34
	s_xor_b64 exec, exec, s[2:3]
	s_cbranch_execz .LBB20_600
.LBB20_620:
	v_cmp_ne_u16_e32 vcc, 0, v3
	s_andn2_b64 s[0:1], s[0:1], exec
	s_and_b64 s[4:5], vcc, exec
	v_mov_b32_e32 v2, 0
	s_or_b64 s[0:1], s[0:1], s[4:5]
	s_or_b64 exec, exec, s[2:3]
	s_and_saveexec_b64 s[2:3], s[0:1]
	s_cbranch_execnz .LBB20_601
	s_branch .LBB20_602
.LBB20_621:
	s_mov_b64 s[30:31], -1
                                        ; implicit-def: $vgpr2
.LBB20_622:
	s_mov_b64 s[2:3], 0
.LBB20_623:
	s_and_b64 vcc, exec, s[2:3]
	s_cbranch_vccz .LBB20_627
; %bb.624:
	v_cmp_eq_u16_e32 vcc, 11, v8
	s_cbranch_vccz .LBB20_626
; %bb.625:
	global_load_ubyte v2, v[0:1], off
	s_mov_b64 s[0:1], -1
	s_mov_b64 s[30:31], 0
	s_waitcnt vmcnt(0)
	v_cmp_ne_u16_e32 vcc, 0, v2
	v_cndmask_b32_e64 v2, 0, 1.0, vcc
	s_branch .LBB20_627
.LBB20_626:
	s_mov_b64 s[30:31], -1
                                        ; implicit-def: $vgpr2
.LBB20_627:
	s_mov_b64 s[2:3], 0
.LBB20_628:
	s_and_b64 vcc, exec, s[2:3]
	s_cbranch_vccz .LBB20_677
; %bb.629:
	v_cmp_gt_i16_e32 vcc, 5, v8
	s_cbranch_vccnz .LBB20_634
; %bb.630:
	v_cmp_gt_i16_e32 vcc, 8, v8
	s_cbranch_vccnz .LBB20_635
	;; [unrolled: 3-line block ×3, first 2 shown]
; %bb.632:
	v_cmp_lt_i16_e32 vcc, 9, v8
	s_cbranch_vccz .LBB20_637
; %bb.633:
	global_load_dwordx2 v[2:3], v[0:1], off
	s_mov_b64 s[0:1], 0
	s_waitcnt vmcnt(0)
	v_cvt_f32_f64_e32 v2, v[2:3]
	s_branch .LBB20_638
.LBB20_634:
	s_mov_b64 s[0:1], -1
                                        ; implicit-def: $vgpr2
	s_branch .LBB20_656
.LBB20_635:
	s_mov_b64 s[0:1], -1
                                        ; implicit-def: $vgpr2
	s_branch .LBB20_644
.LBB20_636:
	s_mov_b64 s[0:1], -1
                                        ; implicit-def: $vgpr2
	s_branch .LBB20_641
.LBB20_637:
	s_mov_b64 s[0:1], -1
                                        ; implicit-def: $vgpr2
.LBB20_638:
	s_andn2_b64 vcc, exec, s[0:1]
	s_cbranch_vccnz .LBB20_640
; %bb.639:
	global_load_dword v2, v[0:1], off
.LBB20_640:
	s_mov_b64 s[0:1], 0
.LBB20_641:
	s_andn2_b64 vcc, exec, s[0:1]
	s_cbranch_vccnz .LBB20_643
; %bb.642:
	global_load_dword v2, v[0:1], off
	s_waitcnt vmcnt(0)
	v_cvt_f32_f16_e32 v2, v2
.LBB20_643:
	s_mov_b64 s[0:1], 0
.LBB20_644:
	s_andn2_b64 vcc, exec, s[0:1]
	s_cbranch_vccnz .LBB20_655
; %bb.645:
	v_cmp_gt_i16_e32 vcc, 6, v8
	s_cbranch_vccnz .LBB20_648
; %bb.646:
	v_cmp_lt_i16_e32 vcc, 6, v8
	s_cbranch_vccz .LBB20_649
; %bb.647:
	global_load_dwordx2 v[2:3], v[0:1], off
	s_mov_b64 s[0:1], 0
	s_waitcnt vmcnt(0)
	v_cvt_f32_f64_e32 v2, v[2:3]
	s_branch .LBB20_650
.LBB20_648:
	s_mov_b64 s[0:1], -1
                                        ; implicit-def: $vgpr2
	s_branch .LBB20_653
.LBB20_649:
	s_mov_b64 s[0:1], -1
                                        ; implicit-def: $vgpr2
.LBB20_650:
	s_andn2_b64 vcc, exec, s[0:1]
	s_cbranch_vccnz .LBB20_652
; %bb.651:
	global_load_dword v2, v[0:1], off
.LBB20_652:
	s_mov_b64 s[0:1], 0
.LBB20_653:
	s_andn2_b64 vcc, exec, s[0:1]
	s_cbranch_vccnz .LBB20_655
; %bb.654:
	global_load_ushort v2, v[0:1], off
	s_waitcnt vmcnt(0)
	v_cvt_f32_f16_e32 v2, v2
.LBB20_655:
	s_mov_b64 s[0:1], 0
.LBB20_656:
	s_andn2_b64 vcc, exec, s[0:1]
	s_cbranch_vccnz .LBB20_676
; %bb.657:
	v_cmp_gt_i16_e32 vcc, 2, v8
	s_cbranch_vccnz .LBB20_661
; %bb.658:
	v_cmp_gt_i16_e32 vcc, 3, v8
	s_cbranch_vccnz .LBB20_662
; %bb.659:
	v_cmp_lt_i16_e32 vcc, 3, v8
	s_cbranch_vccz .LBB20_663
; %bb.660:
	global_load_dwordx2 v[2:3], v[0:1], off
	s_mov_b64 s[0:1], 0
	s_waitcnt vmcnt(0)
	v_xor_b32_e32 v5, v2, v3
	v_ffbh_i32_e32 v4, v3
	v_ashrrev_i32_e32 v5, 31, v5
	v_add_u32_e32 v4, -1, v4
	v_add_u32_e32 v5, 32, v5
	v_min_u32_e32 v4, v4, v5
	v_lshlrev_b64 v[2:3], v4, v[2:3]
	v_min_u32_e32 v2, 1, v2
	v_or_b32_e32 v2, v3, v2
	v_cvt_f32_i32_e32 v2, v2
	v_sub_u32_e32 v3, 32, v4
	v_ldexp_f32 v2, v2, v3
	s_branch .LBB20_664
.LBB20_661:
	s_mov_b64 s[0:1], -1
                                        ; implicit-def: $vgpr2
	s_branch .LBB20_670
.LBB20_662:
	s_mov_b64 s[0:1], -1
                                        ; implicit-def: $vgpr2
	s_branch .LBB20_667
.LBB20_663:
	s_mov_b64 s[0:1], -1
                                        ; implicit-def: $vgpr2
.LBB20_664:
	s_andn2_b64 vcc, exec, s[0:1]
	s_cbranch_vccnz .LBB20_666
; %bb.665:
	global_load_dword v2, v[0:1], off
	s_waitcnt vmcnt(0)
	v_cvt_f32_i32_e32 v2, v2
.LBB20_666:
	s_mov_b64 s[0:1], 0
.LBB20_667:
	s_andn2_b64 vcc, exec, s[0:1]
	s_cbranch_vccnz .LBB20_669
; %bb.668:
	global_load_sshort v2, v[0:1], off
	s_waitcnt vmcnt(0)
	v_cvt_f32_i32_e32 v2, v2
.LBB20_669:
	s_mov_b64 s[0:1], 0
.LBB20_670:
	s_andn2_b64 vcc, exec, s[0:1]
	s_cbranch_vccnz .LBB20_676
; %bb.671:
	v_cmp_lt_i16_e32 vcc, 0, v8
	s_cbranch_vccz .LBB20_673
; %bb.672:
	global_load_sbyte v2, v[0:1], off
	s_mov_b64 s[0:1], 0
	s_waitcnt vmcnt(0)
	v_cvt_f32_i32_e32 v2, v2
	s_branch .LBB20_674
.LBB20_673:
	s_mov_b64 s[0:1], -1
                                        ; implicit-def: $vgpr2
.LBB20_674:
	s_andn2_b64 vcc, exec, s[0:1]
	s_cbranch_vccnz .LBB20_676
; %bb.675:
	global_load_ubyte v0, v[0:1], off
	s_waitcnt vmcnt(0)
	v_cvt_f32_ubyte0_e32 v2, v0
.LBB20_676:
	s_mov_b64 s[0:1], -1
.LBB20_677:
	s_andn2_b64 vcc, exec, s[0:1]
	s_cbranch_vccnz .LBB20_687
; %bb.678:
	s_waitcnt vmcnt(0)
	v_cmp_gt_f32_e32 vcc, 0, v2
	v_cndmask_b32_e64 v1, v2, -v2, vcc
	s_mov_b32 s0, 0x40a00000
	v_cmp_ge_f32_e32 vcc, s0, v1
	v_mul_f32_e32 v2, v1, v1
                                        ; implicit-def: $vgpr0
	s_and_saveexec_b64 s[0:1], vcc
	s_xor_b64 s[0:1], exec, s[0:1]
	s_cbranch_execz .LBB20_684
; %bb.679:
	s_mov_b32 s2, 0x3727c5ac
	v_cmp_ngt_f32_e32 vcc, s2, v1
                                        ; implicit-def: $vgpr0
	s_and_saveexec_b64 s[2:3], vcc
	s_xor_b64 s[2:3], exec, s[2:3]
	s_cbranch_execz .LBB20_681
; %bb.680:
	v_mov_b32_e32 v1, 0x43f9c815
	v_fmac_f32_e32 v1, 0, v2
	v_mov_b32_e32 v3, 0x4829b65a
	v_fmac_f32_e32 v3, v2, v1
	;; [unrolled: 2-line block ×4, first 2 shown]
	s_mov_b32 s4, 0xcf8ee29d
	v_mul_f32_e32 v0, 0, v2
	v_mul_f32_e32 v1, v2, v3
	s_mov_b32 s5, 0x53f5f59c
	v_pk_add_f32 v[0:1], v[0:1], s[4:5]
	s_mov_b32 s4, 0x53e3ba8e
	s_mov_b32 s5, 0x578d3514
	v_pk_fma_f32 v[0:1], v[2:3], v[0:1], s[4:5] op_sel_hi:[0,1,1]
	s_mov_b32 s4, 0xd762b0a7
	s_mov_b32 s5, 0x5ae20a0c
	v_pk_fma_f32 v[0:1], v[2:3], v[0:1], s[4:5] op_sel_hi:[0,1,1]
	;; [unrolled: 3-line block ×3, first 2 shown]
	s_mov_b32 s4, 0xc0b90fdc
	s_mov_b32 s5, 0xc1f3c525
	v_pk_add_f32 v[2:3], v[2:3], s[4:5] op_sel_hi:[0,1]
	v_mul_f32_e32 v2, v2, v3
	v_mul_f32_e32 v0, v2, v0
	v_div_scale_f32 v2, s[4:5], v1, v1, v0
	v_rcp_f32_e32 v3, v2
	v_fma_f32 v4, -v2, v3, 1.0
	v_fmac_f32_e32 v3, v4, v3
	v_div_scale_f32 v4, vcc, v0, v1, v0
	v_mul_f32_e32 v5, v4, v3
	v_fma_f32 v6, -v2, v5, v4
	v_fmac_f32_e32 v5, v6, v3
	v_fma_f32 v2, -v2, v5, v4
	v_div_fmas_f32 v2, v2, v3, v5
	v_div_fixup_f32 v0, v2, v1, v0
                                        ; implicit-def: $vgpr2
.LBB20_681:
	s_andn2_saveexec_b64 s[2:3], s[2:3]
; %bb.682:
	s_mov_b32 s4, 0xbe800000
	v_fma_f32 v0, v2, s4, 1.0
; %bb.683:
	s_or_b64 exec, exec, s[2:3]
                                        ; implicit-def: $vgpr2
                                        ; implicit-def: $vgpr1
.LBB20_684:
	s_andn2_saveexec_b64 s[34:35], s[0:1]
	s_cbranch_execz .LBB20_695
; %bb.685:
	v_add_f32_e32 v0, 0xbf490fdb, v1
	v_and_b32_e32 v3, 0x7fffffff, v0
	s_brev_b32 s0, 18
	v_cmp_nlt_f32_e64 s[36:37], |v0|, s0
	v_lshrrev_b32_e32 v11, 23, v3
                                        ; implicit-def: $vgpr4
                                        ; implicit-def: $vgpr5
	s_and_saveexec_b64 s[0:1], s[36:37]
	s_xor_b64 s[38:39], exec, s[0:1]
	s_cbranch_execz .LBB20_688
; %bb.686:
	v_add_u32_e32 v4, 0xffffff88, v11
	v_not_b32_e32 v6, 63
	v_cmp_lt_u32_e32 vcc, 63, v4
	v_cndmask_b32_e32 v6, 0, v6, vcc
	v_add_u32_e32 v4, v6, v4
	v_not_b32_e32 v6, 31
	v_cmp_lt_u32_e64 s[0:1], 31, v4
	v_cndmask_b32_e64 v7, 0, v6, s[0:1]
	v_add_u32_e32 v4, v7, v4
	v_cmp_lt_u32_e64 s[2:3], 31, v4
	v_cndmask_b32_e64 v6, 0, v6, s[2:3]
	v_add_u32_e32 v22, v6, v4
	v_and_b32_e32 v4, 0x7fffff, v3
	v_or_b32_e32 v23, 0x800000, v4
	s_mov_b32 s4, 0xfe5163ab
	v_mad_u64_u32 v[6:7], s[4:5], v23, s4, 0
	v_mov_b32_e32 v5, 0
	v_mov_b32_e32 v4, v7
	s_mov_b32 s4, 0x3c439041
	v_mad_u64_u32 v[12:13], s[4:5], v23, s4, v[4:5]
	v_mov_b32_e32 v4, v13
	s_mov_b32 s4, 0xdb629599
	v_mad_u64_u32 v[14:15], s[4:5], v23, s4, v[4:5]
	;; [unrolled: 3-line block ×6, first 2 shown]
	v_cndmask_b32_e32 v7, v20, v16, vcc
	v_cndmask_b32_e32 v4, v4, v18, vcc
	;; [unrolled: 1-line block ×3, first 2 shown]
	v_cndmask_b32_e64 v13, v4, v7, s[0:1]
	v_cndmask_b32_e64 v4, v5, v4, s[0:1]
	v_cndmask_b32_e32 v5, v18, v14, vcc
	v_cndmask_b32_e64 v7, v7, v5, s[0:1]
	v_cndmask_b32_e32 v12, v16, v12, vcc
	v_cndmask_b32_e64 v4, v4, v13, s[2:3]
	v_cndmask_b32_e64 v13, v13, v7, s[2:3]
	v_sub_u32_e32 v15, 32, v22
	v_cndmask_b32_e64 v5, v5, v12, s[0:1]
	v_alignbit_b32 v17, v4, v13, v15
	v_cmp_eq_u32_e64 s[4:5], 0, v22
	v_cndmask_b32_e64 v7, v7, v5, s[2:3]
	v_cndmask_b32_e64 v4, v17, v4, s[4:5]
	v_alignbit_b32 v16, v13, v7, v15
	v_cndmask_b32_e64 v13, v16, v13, s[4:5]
	v_bfe_u32 v18, v4, 29, 1
	v_cndmask_b32_e32 v6, v14, v6, vcc
	v_alignbit_b32 v16, v4, v13, 30
	v_sub_u32_e32 v19, 0, v18
	v_cndmask_b32_e64 v6, v12, v6, s[0:1]
	v_xor_b32_e32 v20, v16, v19
	v_cndmask_b32_e64 v5, v5, v6, s[2:3]
	v_alignbit_b32 v6, v7, v5, v15
	v_ffbh_u32_e32 v12, v20
	v_cndmask_b32_e64 v6, v6, v7, s[4:5]
	v_add_u32_e32 v12, 1, v12
	v_cmp_ne_u32_e32 vcc, v16, v19
	v_alignbit_b32 v7, v13, v6, 30
	v_cndmask_b32_e32 v12, 33, v12, vcc
	v_alignbit_b32 v5, v6, v5, 30
	v_xor_b32_e32 v7, v7, v19
	v_sub_u32_e32 v13, 32, v12
	v_xor_b32_e32 v5, v5, v19
	v_alignbit_b32 v14, v20, v7, v13
	v_alignbit_b32 v5, v7, v5, v13
	;; [unrolled: 1-line block ×3, first 2 shown]
	v_ffbh_u32_e32 v7, v6
	v_min_u32_e32 v7, 32, v7
	v_lshrrev_b32_e32 v17, 29, v4
	v_sub_u32_e32 v13, 31, v7
	v_alignbit_b32 v5, v6, v5, v13
	v_lshlrev_b32_e32 v6, 31, v17
	v_or_b32_e32 v13, 0x33800000, v6
	v_add_lshl_u32 v7, v7, v12, 23
	v_lshrrev_b32_e32 v5, 9, v5
	v_sub_u32_e32 v7, v13, v7
	v_or_b32_e32 v5, v7, v5
	v_alignbit_b32 v7, v12, v14, 9
	v_or_b32_e32 v6, v7, v6
	v_xor_b32_e32 v6, 1.0, v6
	s_mov_b32 s0, 0x3fc90fda
	v_mul_f32_e32 v7, 0x3fc90fda, v6
	v_fma_f32 v12, v6, s0, -v7
	v_fmac_f32_e32 v12, 0x33a22168, v6
	v_fmac_f32_e32 v12, 0x3fc90fda, v5
	v_lshrrev_b32_e32 v4, 30, v4
	v_add_f32_e32 v5, v7, v12
	v_add_u32_e32 v4, v18, v4
	s_andn2_saveexec_b64 s[0:1], s[38:39]
	s_branch .LBB20_689
.LBB20_687:
	s_mov_b64 s[4:5], 0
                                        ; implicit-def: $vgpr9
	s_mov_b64 s[0:1], s[24:25]
	s_branch .LBB20_818
.LBB20_688:
	s_andn2_saveexec_b64 s[0:1], s[38:39]
.LBB20_689:
	s_mov_b32 s2, 0x3f22f983
	v_mul_f32_e64 v4, |v0|, s2
	v_rndne_f32_e32 v6, v4
	s_mov_b32 s2, 0xbfc90fda
	v_cvt_i32_f32_e32 v4, v6
	v_fma_f32 v5, v6, s2, |v0|
	v_fmac_f32_e32 v5, 0xb3a22168, v6
	v_fmac_f32_e32 v5, 0xa7c234c4, v6
; %bb.690:
	s_or_b64 exec, exec, s[0:1]
                                        ; implicit-def: $vgpr6
                                        ; implicit-def: $vgpr7
	s_and_saveexec_b64 s[0:1], s[36:37]
	s_xor_b64 s[36:37], exec, s[0:1]
	s_cbranch_execz .LBB20_692
; %bb.691:
	v_add_u32_e32 v6, 0xffffff88, v11
	v_not_b32_e32 v11, 63
	v_cmp_lt_u32_e32 vcc, 63, v6
	v_cndmask_b32_e32 v11, 0, v11, vcc
	v_add_u32_e32 v6, v11, v6
	v_not_b32_e32 v11, 31
	v_cmp_lt_u32_e64 s[0:1], 31, v6
	v_cndmask_b32_e64 v12, 0, v11, s[0:1]
	v_add_u32_e32 v6, v12, v6
	v_cmp_lt_u32_e64 s[2:3], 31, v6
	v_cndmask_b32_e64 v11, 0, v11, s[2:3]
	v_add_u32_e32 v11, v11, v6
	v_and_b32_e32 v6, 0x7fffff, v3
	v_or_b32_e32 v24, 0x800000, v6
	s_mov_b32 s4, 0xfe5163ab
	v_mad_u64_u32 v[12:13], s[4:5], v24, s4, 0
	v_mov_b32_e32 v7, 0
	v_mov_b32_e32 v6, v13
	s_mov_b32 s4, 0x3c439041
	v_mad_u64_u32 v[14:15], s[4:5], v24, s4, v[6:7]
	v_mov_b32_e32 v6, v15
	s_mov_b32 s4, 0xdb629599
	v_mad_u64_u32 v[16:17], s[4:5], v24, s4, v[6:7]
	;; [unrolled: 3-line block ×6, first 2 shown]
	v_cndmask_b32_e32 v13, v22, v18, vcc
	v_cndmask_b32_e32 v6, v6, v20, vcc
	;; [unrolled: 1-line block ×3, first 2 shown]
	v_cndmask_b32_e64 v15, v6, v13, s[0:1]
	v_cndmask_b32_e64 v6, v7, v6, s[0:1]
	v_cndmask_b32_e32 v7, v20, v16, vcc
	v_cndmask_b32_e64 v13, v13, v7, s[0:1]
	v_sub_u32_e32 v17, 32, v11
	v_cmp_eq_u32_e64 s[4:5], 0, v11
	v_cndmask_b32_e32 v11, v18, v14, vcc
	v_cndmask_b32_e64 v6, v6, v15, s[2:3]
	v_cndmask_b32_e64 v15, v15, v13, s[2:3]
	;; [unrolled: 1-line block ×3, first 2 shown]
	v_alignbit_b32 v19, v6, v15, v17
	v_cndmask_b32_e64 v13, v13, v7, s[2:3]
	v_cndmask_b32_e64 v6, v19, v6, s[4:5]
	v_alignbit_b32 v14, v15, v13, v17
	v_cndmask_b32_e32 v12, v16, v12, vcc
	v_cndmask_b32_e64 v14, v14, v15, s[4:5]
	v_bfe_u32 v19, v6, 29, 1
	v_cndmask_b32_e64 v11, v11, v12, s[0:1]
	v_alignbit_b32 v15, v6, v14, 30
	v_sub_u32_e32 v20, 0, v19
	v_cndmask_b32_e64 v7, v7, v11, s[2:3]
	v_xor_b32_e32 v21, v15, v20
	v_alignbit_b32 v11, v13, v7, v17
	v_cndmask_b32_e64 v11, v11, v13, s[4:5]
	v_ffbh_u32_e32 v13, v21
	v_add_u32_e32 v13, 1, v13
	v_cmp_ne_u32_e32 vcc, v15, v20
	v_alignbit_b32 v12, v14, v11, 30
	v_cndmask_b32_e32 v13, 33, v13, vcc
	v_alignbit_b32 v7, v11, v7, 30
	v_xor_b32_e32 v12, v12, v20
	v_sub_u32_e32 v14, 32, v13
	v_xor_b32_e32 v7, v7, v20
	v_alignbit_b32 v15, v21, v12, v14
	v_alignbit_b32 v7, v12, v7, v14
	;; [unrolled: 1-line block ×3, first 2 shown]
	v_ffbh_u32_e32 v12, v11
	v_min_u32_e32 v12, 32, v12
	v_lshrrev_b32_e32 v18, 29, v6
	v_sub_u32_e32 v14, 31, v12
	v_alignbit_b32 v7, v11, v7, v14
	v_lshlrev_b32_e32 v11, 31, v18
	v_or_b32_e32 v14, 0x33800000, v11
	v_add_lshl_u32 v12, v12, v13, 23
	v_lshrrev_b32_e32 v7, 9, v7
	v_sub_u32_e32 v12, v14, v12
	v_or_b32_e32 v7, v12, v7
	v_alignbit_b32 v12, v13, v15, 9
	v_or_b32_e32 v11, v12, v11
	v_xor_b32_e32 v11, 1.0, v11
	s_mov_b32 s0, 0x3fc90fda
	v_mul_f32_e32 v12, 0x3fc90fda, v11
	v_fma_f32 v13, v11, s0, -v12
	v_fmac_f32_e32 v13, 0x33a22168, v11
	v_fmac_f32_e32 v13, 0x3fc90fda, v7
	v_lshrrev_b32_e32 v6, 30, v6
	v_add_f32_e32 v7, v12, v13
	v_add_u32_e32 v6, v19, v6
	s_andn2_saveexec_b64 s[0:1], s[36:37]
	s_cbranch_execnz .LBB20_693
	s_branch .LBB20_694
.LBB20_692:
	s_andn2_saveexec_b64 s[0:1], s[36:37]
.LBB20_693:
	s_mov_b32 s2, 0x3f22f983
	v_mul_f32_e64 v6, |v0|, s2
	v_rndne_f32_e32 v11, v6
	s_mov_b32 s2, 0xbfc90fda
	v_cvt_i32_f32_e32 v6, v11
	v_fma_f32 v7, v11, s2, |v0|
	v_fmac_f32_e32 v7, 0xb3a22168, v11
	v_fmac_f32_e32 v7, 0xa7c234c4, v11
.LBB20_694:
	s_or_b64 exec, exec, s[0:1]
	s_mov_b32 s2, 0x41c80000
	v_div_scale_f32 v11, s[0:1], v2, v2, s2
	v_rcp_f32_e32 v12, v11
	v_div_scale_f32 v13, vcc, s2, v2, s2
	v_mov_b32_e32 v19, 0xbf000004
	v_fma_f32 v14, -v11, v12, 1.0
	v_fmac_f32_e32 v12, v14, v12
	v_mul_f32_e32 v14, v13, v12
	v_fma_f32 v15, -v11, v14, v13
	v_fmac_f32_e32 v14, v15, v12
	v_fma_f32 v11, -v11, v14, v13
	v_div_fmas_f32 v11, v11, v12, v14
	v_div_fixup_f32 v2, v11, v2, s2
	v_mov_b32_e32 v11, 0x3a50e985
	v_fmac_f32_e32 v11, 0, v2
	v_mov_b32_e32 v12, 0x3da9a586
	v_fmac_f32_e32 v12, v2, v11
	v_mov_b32_e32 v11, 0x3f9ea90a
	v_fmac_f32_e32 v11, v2, v12
	v_mov_b32_e32 v12, 0x40ae4fdf
	v_fmac_f32_e32 v12, v2, v11
	v_mov_b32_e32 v11, 0x410bf463
	v_fmac_f32_e32 v11, v2, v12
	v_mov_b32_e32 v12, 0x40a9b425
	v_fmac_f32_e32 v12, v2, v11
	v_mov_b32_e32 v11, 0x3a725406
	v_fmac_f32_e32 v11, 0, v2
	v_mov_b32_e32 v13, 0x3daf5e2d
	v_fmac_f32_e32 v13, v2, v11
	v_mov_b32_e32 v11, 0x3fa07396
	v_fmac_f32_e32 v11, v2, v13
	v_mov_b32_e32 v13, 0x40af123f
	v_fmac_f32_e32 v13, v2, v11
	v_mov_b32_e32 v11, 0x410c30c7
	v_fmac_f32_e32 v11, v2, v13
	v_mov_b32_e32 v13, 0x40a9cb2f
	v_fmac_f32_e32 v13, v2, v11
	v_fma_f32 v11, v2, v13, 1.0
	v_mov_b32_e32 v13, 0xbc3a3a12
	v_fmac_f32_e32 v13, 0, v2
	v_mov_b32_e32 v14, 0xbfa429da
	v_fmac_f32_e32 v14, v2, v13
	;; [unrolled: 2-line block ×9, first 2 shown]
	v_mov_b32_e32 v15, 0x44561b86
	v_fma_f32 v12, v2, v12, 1.0
	v_fmac_f32_e32 v15, v2, v13
	v_mov_b32_e32 v13, 0x4572a66e
	v_div_scale_f32 v16, s[0:1], v11, v11, v12
	v_fmac_f32_e32 v13, v2, v15
	v_mov_b32_e32 v15, 0x45e243be
	v_rcp_f32_e32 v17, v16
	v_fmac_f32_e32 v15, v2, v13
	v_mov_b32_e32 v13, 0x45b955d1
	v_fmac_f32_e32 v13, v2, v15
	v_mov_b32_e32 v15, 0x4500e17e
	;; [unrolled: 2-line block ×3, first 2 shown]
	v_fmac_f32_e32 v13, v2, v15
	v_fma_f32 v2, -v16, v17, 1.0
	v_fmac_f32_e32 v17, v2, v17
	v_div_scale_f32 v2, vcc, v12, v11, v12
	v_mul_f32_e32 v15, v2, v17
	v_fma_f32 v18, -v16, v15, v2
	v_fmac_f32_e32 v15, v18, v17
	v_fma_f32 v2, -v16, v15, v2
	v_div_fmas_f32 v2, v2, v17, v15
	v_div_fixup_f32 v2, v2, v11, v12
	v_mul_f32_e32 v11, v5, v5
	v_mov_b32_e32 v17, 0xbab64f3b
	v_mov_b32_e32 v15, 0x3c0881c4
	v_fmac_f32_e32 v17, 0x37d75334, v11
	v_mov_b32_e32 v18, 0x3d2aabf7
	v_fmac_f32_e32 v15, 0xb94c1982, v11
	v_mov_b32_e32 v16, 0xbe2aaa9d
	v_fma_f32 v17, v11, v17, v18
	v_fma_f32 v15, v11, v15, v16
	;; [unrolled: 1-line block ×3, first 2 shown]
	v_mul_f32_e32 v15, v11, v15
	v_fma_f32 v11, v11, v17, 1.0
	v_and_b32_e32 v17, 1, v4
	v_fmac_f32_e32 v5, v5, v15
	v_cmp_eq_u32_e32 vcc, 0, v17
	v_lshlrev_b32_e32 v4, 30, v4
	v_cndmask_b32_e64 v5, -v5, v11, vcc
	v_and_b32_e32 v4, 0x80000000, v4
	s_mov_b32 s4, 0xc0a00000
	v_xor_b32_e32 v4, v4, v5
	v_div_scale_f32 v5, s[0:1], v1, v1, s4
	v_rcp_f32_e32 v11, v5
	s_movk_i32 s2, 0x1f8
	v_cmp_class_f32_e64 s[0:1], v0, s2
	v_mov_b32_e32 v12, 0x3c0881c4
	v_fma_f32 v20, -v5, v11, 1.0
	v_fmac_f32_e32 v11, v20, v11
	v_div_scale_f32 v20, vcc, s4, v1, s4
	v_mul_f32_e32 v21, v20, v11
	v_fma_f32 v22, -v5, v21, v20
	v_fmac_f32_e32 v21, v22, v11
	v_fma_f32 v5, -v5, v21, v20
	v_div_scale_f32 v20, s[2:3], v13, v13, v14
	v_rcp_f32_e32 v22, v20
	v_div_fmas_f32 v5, v5, v11, v21
	v_div_fixup_f32 v5, v5, v1, s4
	v_mov_b32_e32 v15, 0xbab64f3b
	v_fma_f32 v11, -v20, v22, 1.0
	v_fmac_f32_e32 v22, v11, v22
	v_div_scale_f32 v11, vcc, v14, v13, v14
	v_mul_f32_e32 v21, v11, v22
	v_fma_f32 v23, -v20, v21, v11
	v_fmac_f32_e32 v21, v23, v22
	v_fma_f32 v11, -v20, v21, v11
	v_div_fmas_f32 v11, v11, v22, v21
	v_div_fixup_f32 v11, v11, v13, v14
	v_mul_f32_e32 v5, v5, v11
	v_mul_f32_e32 v11, v7, v7
	v_fmac_f32_e32 v12, 0xb94c1982, v11
	v_fmac_f32_e32 v16, v11, v12
	;; [unrolled: 1-line block ×3, first 2 shown]
	v_mul_f32_e32 v12, v11, v16
	v_fmac_f32_e32 v18, v11, v15
	v_fmac_f32_e32 v7, v7, v12
	;; [unrolled: 1-line block ×3, first 2 shown]
	v_and_b32_e32 v12, 1, v6
	v_lshlrev_b32_e32 v6, 30, v6
	v_fma_f32 v11, v11, v19, 1.0
	v_cmp_eq_u32_e32 vcc, 0, v12
	v_and_b32_e32 v6, 0x80000000, v6
	v_xor_b32_e32 v0, v3, v0
	v_cndmask_b32_e32 v7, v11, v7, vcc
	v_xor_b32_e32 v0, v0, v6
	v_mov_b32_e32 v17, 0x7fc00000
	v_xor_b32_e32 v0, v0, v7
	v_cndmask_b32_e64 v4, v17, v4, s[0:1]
	v_cndmask_b32_e64 v0, v17, v0, s[0:1]
	s_mov_b32 s0, 0xf800000
	v_mul_f32_e32 v3, 0x4f800000, v1
	v_cmp_gt_f32_e32 vcc, s0, v1
	v_cndmask_b32_e32 v1, v1, v3, vcc
	v_sqrt_f32_e32 v3, v1
	v_mul_f32_e32 v0, v5, v0
	v_fmac_f32_e32 v0, v2, v4
	v_mul_f32_e32 v0, 0x3f4c422a, v0
	v_add_u32_e32 v2, -1, v3
	v_fma_f32 v4, -v2, v3, v1
	v_cmp_ge_f32_e64 s[0:1], 0, v4
	v_add_u32_e32 v4, 1, v3
	v_cndmask_b32_e64 v2, v3, v2, s[0:1]
	v_fma_f32 v3, -v4, v3, v1
	v_cmp_lt_f32_e64 s[0:1], 0, v3
	v_cndmask_b32_e64 v2, v2, v4, s[0:1]
	v_mul_f32_e32 v3, 0x37800000, v2
	v_cndmask_b32_e32 v2, v2, v3, vcc
	v_mov_b32_e32 v3, 0x260
	v_cmp_class_f32_e32 vcc, v1, v3
	v_cndmask_b32_e32 v1, v2, v1, vcc
	v_div_scale_f32 v2, s[0:1], v1, v1, v0
	v_rcp_f32_e32 v3, v2
	v_fma_f32 v4, -v2, v3, 1.0
	v_fmac_f32_e32 v3, v4, v3
	v_div_scale_f32 v4, vcc, v0, v1, v0
	v_mul_f32_e32 v5, v4, v3
	v_fma_f32 v6, -v2, v5, v4
	v_fmac_f32_e32 v5, v6, v3
	v_fma_f32 v2, -v2, v5, v4
	v_div_fmas_f32 v2, v2, v3, v5
	v_div_fixup_f32 v0, v2, v1, v0
.LBB20_695:
	s_or_b64 exec, exec, s[34:35]
	v_mul_lo_u32 v1, v9, s12
	v_ashrrev_i32_e32 v3, 31, v1
	v_mov_b32_e32 v4, s9
	v_add_co_u32_e32 v2, vcc, s8, v1
	v_mov_b32_e32 v1, 11
	v_addc_co_u32_e32 v3, vcc, v4, v3, vcc
	v_cmp_lt_i16_sdwa s[0:1], v10, v1 src0_sel:BYTE_0 src1_sel:DWORD
	s_and_b64 vcc, exec, s[0:1]
	s_cbranch_vccnz .LBB20_702
; %bb.696:
	v_mov_b32_e32 v1, 25
	v_cmp_gt_i16_sdwa s[0:1], v10, v1 src0_sel:BYTE_0 src1_sel:DWORD
	s_and_b64 vcc, exec, s[0:1]
	s_cbranch_vccz .LBB20_703
; %bb.697:
	v_mov_b32_e32 v1, 28
	v_cmp_gt_i16_sdwa s[0:1], v10, v1 src0_sel:BYTE_0 src1_sel:DWORD
	s_and_b64 vcc, exec, s[0:1]
	s_cbranch_vccz .LBB20_704
	;; [unrolled: 5-line block ×4, first 2 shown]
; %bb.700:
	v_mov_b32_e32 v1, 46
	v_cmp_eq_u16_sdwa s[2:3], v10, v1 src0_sel:BYTE_0 src1_sel:DWORD
	s_mov_b64 s[4:5], 0
	s_mov_b64 s[0:1], -1
	s_and_b64 vcc, exec, s[2:3]
	s_mov_b64 s[2:3], 0
	s_cbranch_vccz .LBB20_707
; %bb.701:
	v_bfe_u32 v1, v0, 16, 1
	s_movk_i32 s0, 0x7fff
	v_add3_u32 v1, v0, v1, s0
	v_lshrrev_b32_e32 v1, 16, v1
	v_mov_b32_e32 v4, 0x7fc0
	v_cmp_o_f32_e32 vcc, v0, v0
	v_cndmask_b32_e32 v1, v4, v1, vcc
	global_store_dword v[2:3], v1, off
	s_mov_b64 s[2:3], -1
	s_mov_b64 s[0:1], 0
	s_branch .LBB20_707
.LBB20_702:
	s_mov_b64 s[4:5], -1
	s_mov_b64 s[2:3], 0
	s_mov_b64 s[0:1], s[24:25]
	s_branch .LBB20_776
.LBB20_703:
	s_mov_b64 s[4:5], -1
	s_mov_b64 s[2:3], 0
	s_mov_b64 s[0:1], s[24:25]
	s_branch .LBB20_734
.LBB20_704:
	s_mov_b64 s[4:5], -1
	s_mov_b64 s[2:3], 0
	s_mov_b64 s[0:1], s[24:25]
	s_branch .LBB20_717
.LBB20_705:
	s_mov_b64 s[4:5], -1
	s_mov_b64 s[2:3], 0
	s_mov_b64 s[0:1], s[24:25]
	s_branch .LBB20_713
.LBB20_706:
	s_mov_b64 s[4:5], -1
	s_mov_b64 s[2:3], 0
	s_mov_b64 s[0:1], s[24:25]
.LBB20_707:
	s_and_b64 vcc, exec, s[4:5]
	s_cbranch_vccz .LBB20_712
; %bb.708:
	v_mov_b32_e32 v1, 44
	v_cmp_eq_u16_sdwa s[4:5], v10, v1 src0_sel:BYTE_0 src1_sel:DWORD
	s_mov_b64 s[0:1], -1
	s_and_b64 vcc, exec, s[4:5]
	s_cbranch_vccz .LBB20_712
; %bb.709:
	v_bfe_u32 v1, v0, 23, 8
	s_movk_i32 s0, 0xff
	v_cmp_ne_u32_e32 vcc, s0, v1
	v_mov_b32_e32 v4, 0xff
	s_and_saveexec_b64 s[2:3], vcc
; %bb.710:
	s_mov_b32 s0, 0x3fffff
	v_and_b32_e32 v5, 0x400000, v0
	v_and_or_b32 v1, v0, s0, v1
	v_cmp_ne_u32_e32 vcc, 0, v5
	v_cmp_ne_u32_e64 s[0:1], 0, v1
	s_and_b64 s[0:1], vcc, s[0:1]
	v_lshrrev_b32_e32 v4, 23, v0
	v_cndmask_b32_e64 v1, 0, 1, s[0:1]
	v_add_u32_e32 v4, v4, v1
; %bb.711:
	s_or_b64 exec, exec, s[2:3]
	s_mov_b64 s[2:3], -1
	s_mov_b64 s[0:1], 0
	global_store_byte v[2:3], v4, off
.LBB20_712:
	s_mov_b64 s[4:5], 0
.LBB20_713:
	s_and_b64 vcc, exec, s[4:5]
	s_cbranch_vccz .LBB20_716
; %bb.714:
	v_mov_b32_e32 v1, 29
	v_cmp_eq_u16_sdwa s[4:5], v10, v1 src0_sel:BYTE_0 src1_sel:DWORD
	s_mov_b64 s[0:1], -1
	s_and_b64 vcc, exec, s[4:5]
	s_cbranch_vccz .LBB20_716
; %bb.715:
	v_trunc_f32_e32 v1, v0
	v_mul_f32_e32 v4, 0x2f800000, v1
	v_floor_f32_e32 v4, v4
	v_fmac_f32_e32 v1, 0xcf800000, v4
	v_cvt_u32_f32_e32 v5, v4
	v_cvt_u32_f32_e32 v4, v1
	s_mov_b64 s[2:3], -1
	s_mov_b64 s[0:1], 0
	s_mov_b64 s[4:5], 0
	global_store_dwordx2 v[2:3], v[4:5], off
	s_branch .LBB20_717
.LBB20_716:
	s_mov_b64 s[4:5], 0
.LBB20_717:
	s_and_b64 vcc, exec, s[4:5]
	s_cbranch_vccz .LBB20_733
; %bb.718:
	v_mov_b32_e32 v1, 27
	v_cmp_lt_i16_sdwa s[4:5], v10, v1 src0_sel:BYTE_0 src1_sel:DWORD
	s_mov_b64 s[2:3], -1
	s_and_b64 vcc, exec, s[4:5]
	s_cbranch_vccnz .LBB20_724
; %bb.719:
	v_cmp_gt_i16_sdwa s[4:5], v10, v1 src0_sel:BYTE_0 src1_sel:DWORD
	v_cvt_u32_f32_e32 v1, v0
	s_and_b64 vcc, exec, s[4:5]
	s_cbranch_vccz .LBB20_721
; %bb.720:
	s_mov_b64 s[2:3], 0
	global_store_dword v[2:3], v1, off
.LBB20_721:
	s_andn2_b64 vcc, exec, s[2:3]
	s_cbranch_vccnz .LBB20_723
; %bb.722:
	global_store_short v[2:3], v1, off
.LBB20_723:
	s_mov_b64 s[2:3], 0
.LBB20_724:
	s_andn2_b64 vcc, exec, s[2:3]
	s_cbranch_vccnz .LBB20_732
; %bb.725:
	v_and_b32_e32 v1, 0x7fffffff, v0
	s_mov_b32 s2, 0x43800000
	v_cmp_gt_u32_e32 vcc, s2, v1
	v_mov_b32_e32 v4, 0x80
	s_and_saveexec_b64 s[2:3], vcc
	s_cbranch_execz .LBB20_731
; %bb.726:
	s_mov_b32 s4, 0x3bffffff
	v_cmp_lt_u32_e32 vcc, s4, v1
	s_mov_b64 s[4:5], 0
                                        ; implicit-def: $vgpr1
	s_and_saveexec_b64 s[34:35], vcc
	s_xor_b64 s[34:35], exec, s[34:35]
	s_cbranch_execz .LBB20_832
; %bb.727:
	v_bfe_u32 v1, v0, 20, 1
	s_mov_b32 s36, 0x487ffff
	v_add3_u32 v1, v0, v1, s36
	s_mov_b64 s[4:5], exec
	v_lshrrev_b32_e32 v1, 20, v1
	s_or_saveexec_b64 s[34:35], s[34:35]
                                        ; implicit-def: $sgpr36
	s_xor_b64 exec, exec, s[34:35]
	s_cbranch_execnz .LBB20_833
.LBB20_728:
	s_or_b64 exec, exec, s[34:35]
	v_mov_b32_e32 v4, s36
	s_and_saveexec_b64 s[34:35], s[4:5]
.LBB20_729:
	v_lshrrev_b32_e32 v4, 24, v0
	s_movk_i32 s4, 0x80
	v_and_or_b32 v4, v4, s4, v1
.LBB20_730:
	s_or_b64 exec, exec, s[34:35]
.LBB20_731:
	s_or_b64 exec, exec, s[2:3]
	global_store_byte v[2:3], v4, off
.LBB20_732:
	s_mov_b64 s[2:3], -1
.LBB20_733:
	s_mov_b64 s[4:5], 0
.LBB20_734:
	s_and_b64 vcc, exec, s[4:5]
	s_cbranch_vccz .LBB20_775
; %bb.735:
	v_mov_b32_e32 v1, 22
	v_cmp_gt_i16_sdwa s[34:35], v10, v1 src0_sel:BYTE_0 src1_sel:DWORD
	s_mov_b64 s[4:5], -1
	s_and_b64 vcc, exec, s[34:35]
	s_cbranch_vccz .LBB20_767
; %bb.736:
	v_mov_b32_e32 v1, 24
	v_cmp_lt_i16_sdwa s[4:5], v10, v1 src0_sel:BYTE_0 src1_sel:DWORD
	s_mov_b64 s[2:3], -1
	s_and_b64 vcc, exec, s[4:5]
	s_cbranch_vccnz .LBB20_756
; %bb.737:
	v_cmp_gt_i16_sdwa s[4:5], v10, v1 src0_sel:BYTE_0 src1_sel:DWORD
	s_and_b64 vcc, exec, s[4:5]
	s_cbranch_vccz .LBB20_745
; %bb.738:
	v_and_b32_e32 v1, 0x7fffffff, v0
	s_mov_b32 s2, 0x47800000
	v_cmp_gt_u32_e32 vcc, s2, v1
	v_mov_b32_e32 v4, 0x80
	s_and_saveexec_b64 s[2:3], vcc
	s_cbranch_execz .LBB20_744
; %bb.739:
	s_mov_b32 s4, 0x37ffffff
	v_cmp_lt_u32_e32 vcc, s4, v1
	s_mov_b64 s[4:5], 0
                                        ; implicit-def: $vgpr1
	s_and_saveexec_b64 s[34:35], vcc
	s_xor_b64 s[34:35], exec, s[34:35]
	s_cbranch_execz .LBB20_835
; %bb.740:
	v_bfe_u32 v1, v0, 21, 1
	s_mov_b32 s36, 0x88fffff
	v_add3_u32 v1, v0, v1, s36
	s_mov_b64 s[4:5], exec
	v_lshrrev_b32_e32 v1, 21, v1
	s_or_saveexec_b64 s[34:35], s[34:35]
                                        ; implicit-def: $sgpr36
	s_xor_b64 exec, exec, s[34:35]
	s_cbranch_execnz .LBB20_836
.LBB20_741:
	s_or_b64 exec, exec, s[34:35]
	v_mov_b32_e32 v4, s36
	s_and_saveexec_b64 s[34:35], s[4:5]
.LBB20_742:
	v_lshrrev_b32_e32 v4, 24, v0
	s_movk_i32 s4, 0x80
	v_and_or_b32 v4, v4, s4, v1
.LBB20_743:
	s_or_b64 exec, exec, s[34:35]
.LBB20_744:
	s_or_b64 exec, exec, s[2:3]
	s_mov_b64 s[2:3], 0
	global_store_byte v[2:3], v4, off
.LBB20_745:
	s_and_b64 vcc, exec, s[2:3]
	s_cbranch_vccz .LBB20_755
; %bb.746:
	v_and_b32_e32 v4, 0x7fffffff, v0
	s_mov_b32 s2, 0x43f00000
	v_cmp_gt_u32_e32 vcc, s2, v4
                                        ; implicit-def: $vgpr1
	s_and_saveexec_b64 s[2:3], vcc
	s_xor_b64 s[2:3], exec, s[2:3]
	s_cbranch_execz .LBB20_752
; %bb.747:
	s_mov_b32 s4, 0x3c7fffff
	v_cmp_lt_u32_e32 vcc, s4, v4
                                        ; implicit-def: $vgpr1
	s_and_saveexec_b64 s[4:5], vcc
	s_xor_b64 s[4:5], exec, s[4:5]
; %bb.748:
	v_bfe_u32 v1, v0, 20, 1
	s_mov_b32 s34, 0x407ffff
	v_add3_u32 v1, v0, v1, s34
	v_lshrrev_b32_e32 v4, 20, v1
	v_and_b32_e32 v1, 0xff00000, v1
	s_mov_b32 s34, 0x7f00000
	v_mov_b32_e32 v5, 0x7e
	v_cmp_ne_u32_e32 vcc, s34, v1
	v_cndmask_b32_e32 v1, v5, v4, vcc
; %bb.749:
	s_andn2_saveexec_b64 s[4:5], s[4:5]
; %bb.750:
	s_mov_b32 s34, 0x46800000
	v_add_f32_e64 v1, |v0|, s34
; %bb.751:
	s_or_b64 exec, exec, s[4:5]
                                        ; implicit-def: $vgpr4
.LBB20_752:
	s_andn2_saveexec_b64 s[2:3], s[2:3]
; %bb.753:
	s_mov_b32 s4, 0x7f800000
	v_mov_b32_e32 v1, 0x7e
	v_mov_b32_e32 v5, 0x7f
	v_cmp_lt_u32_e32 vcc, s4, v4
	v_cndmask_b32_e32 v1, v1, v5, vcc
; %bb.754:
	s_or_b64 exec, exec, s[2:3]
	v_lshrrev_b32_e32 v4, 24, v0
	s_movk_i32 s2, 0x80
	v_and_or_b32 v1, v4, s2, v1
	global_store_byte v[2:3], v1, off
.LBB20_755:
	s_mov_b64 s[2:3], 0
.LBB20_756:
	s_andn2_b64 vcc, exec, s[2:3]
	s_cbranch_vccnz .LBB20_766
; %bb.757:
	v_and_b32_e32 v4, 0x7fffffff, v0
	s_mov_b32 s2, 0x47800000
	v_cmp_gt_u32_e32 vcc, s2, v4
                                        ; implicit-def: $vgpr1
	s_and_saveexec_b64 s[2:3], vcc
	s_xor_b64 s[2:3], exec, s[2:3]
	s_cbranch_execz .LBB20_763
; %bb.758:
	s_mov_b32 s4, 0x387fffff
	v_cmp_lt_u32_e32 vcc, s4, v4
                                        ; implicit-def: $vgpr1
	s_and_saveexec_b64 s[4:5], vcc
	s_xor_b64 s[4:5], exec, s[4:5]
; %bb.759:
	v_bfe_u32 v1, v0, 21, 1
	s_mov_b32 s34, 0x80fffff
	v_add3_u32 v1, v0, v1, s34
	v_lshrrev_b32_e32 v1, 21, v1
; %bb.760:
	s_andn2_saveexec_b64 s[4:5], s[4:5]
; %bb.761:
	s_mov_b32 s34, 0x43000000
	v_add_f32_e64 v1, |v0|, s34
; %bb.762:
	s_or_b64 exec, exec, s[4:5]
                                        ; implicit-def: $vgpr4
.LBB20_763:
	s_andn2_saveexec_b64 s[2:3], s[2:3]
; %bb.764:
	s_mov_b32 s4, 0x7f800000
	v_mov_b32_e32 v1, 0x7c
	v_mov_b32_e32 v5, 0x7f
	v_cmp_lt_u32_e32 vcc, s4, v4
	v_cndmask_b32_e32 v1, v1, v5, vcc
; %bb.765:
	s_or_b64 exec, exec, s[2:3]
	v_lshrrev_b32_e32 v4, 24, v0
	s_movk_i32 s2, 0x80
	v_and_or_b32 v1, v4, s2, v1
	global_store_byte v[2:3], v1, off
.LBB20_766:
	s_mov_b64 s[4:5], 0
	s_mov_b64 s[2:3], -1
.LBB20_767:
	s_andn2_b64 vcc, exec, s[4:5]
	s_cbranch_vccnz .LBB20_775
; %bb.768:
	v_mov_b32_e32 v1, 14
	v_cmp_gt_i16_sdwa s[34:35], v10, v1 src0_sel:BYTE_0 src1_sel:DWORD
	s_mov_b64 s[4:5], -1
	s_and_b64 vcc, exec, s[34:35]
	s_cbranch_vccz .LBB20_772
; %bb.769:
	v_mov_b32_e32 v1, 15
	v_cmp_eq_u16_sdwa s[4:5], v10, v1 src0_sel:BYTE_0 src1_sel:DWORD
	s_mov_b64 s[0:1], -1
	s_and_b64 vcc, exec, s[4:5]
	s_cbranch_vccz .LBB20_771
; %bb.770:
	v_bfe_u32 v1, v0, 16, 1
	s_movk_i32 s0, 0x7fff
	v_add3_u32 v1, v0, v1, s0
	v_lshrrev_b32_e32 v1, 16, v1
	v_mov_b32_e32 v4, 0x7fc0
	v_cmp_o_f32_e32 vcc, v0, v0
	v_cndmask_b32_e32 v1, v4, v1, vcc
	global_store_short v[2:3], v1, off
	s_mov_b64 s[2:3], -1
	s_mov_b64 s[0:1], 0
.LBB20_771:
	s_mov_b64 s[4:5], 0
.LBB20_772:
	s_and_b64 vcc, exec, s[4:5]
	s_cbranch_vccz .LBB20_775
; %bb.773:
	v_mov_b32_e32 v1, 11
	v_cmp_eq_u16_sdwa s[4:5], v10, v1 src0_sel:BYTE_0 src1_sel:DWORD
	s_mov_b64 s[0:1], -1
	s_and_b64 vcc, exec, s[4:5]
	s_cbranch_vccz .LBB20_775
; %bb.774:
	v_cmp_neq_f32_e32 vcc, 0, v0
	v_cndmask_b32_e64 v1, 0, 1, vcc
	s_mov_b64 s[2:3], -1
	s_mov_b64 s[0:1], 0
	global_store_byte v[2:3], v1, off
.LBB20_775:
	s_mov_b64 s[4:5], 0
.LBB20_776:
	s_and_b64 vcc, exec, s[4:5]
	s_cbranch_vccz .LBB20_815
; %bb.777:
	v_mov_b32_e32 v1, 5
	v_cmp_lt_i16_sdwa s[4:5], v10, v1 src0_sel:BYTE_0 src1_sel:DWORD
	s_mov_b64 s[2:3], -1
	s_and_b64 vcc, exec, s[4:5]
	s_cbranch_vccnz .LBB20_798
; %bb.778:
	v_mov_b32_e32 v1, 8
	v_cmp_lt_i16_sdwa s[4:5], v10, v1 src0_sel:BYTE_0 src1_sel:DWORD
	s_and_b64 vcc, exec, s[4:5]
	s_cbranch_vccnz .LBB20_788
; %bb.779:
	v_mov_b32_e32 v1, 9
	v_cmp_lt_i16_sdwa s[4:5], v10, v1 src0_sel:BYTE_0 src1_sel:DWORD
	s_and_b64 vcc, exec, s[4:5]
	s_cbranch_vccnz .LBB20_785
; %bb.780:
	v_cmp_gt_i16_sdwa s[4:5], v10, v1 src0_sel:BYTE_0 src1_sel:DWORD
	s_and_b64 vcc, exec, s[4:5]
	s_cbranch_vccz .LBB20_782
; %bb.781:
	v_mov_b32_e32 v6, 0
	v_cvt_f64_f32_e32 v[4:5], v0
	v_mov_b32_e32 v7, v6
	s_mov_b64 s[2:3], 0
	global_store_dwordx4 v[2:3], v[4:7], off
.LBB20_782:
	s_andn2_b64 vcc, exec, s[2:3]
	s_cbranch_vccnz .LBB20_784
; %bb.783:
	v_mov_b32_e32 v1, 0
	global_store_dwordx2 v[2:3], v[0:1], off
.LBB20_784:
	s_mov_b64 s[2:3], 0
.LBB20_785:
	s_andn2_b64 vcc, exec, s[2:3]
	s_cbranch_vccnz .LBB20_787
; %bb.786:
	v_cvt_f16_f32_e32 v1, v0
	global_store_dword v[2:3], v1, off
.LBB20_787:
	s_mov_b64 s[2:3], 0
.LBB20_788:
	s_andn2_b64 vcc, exec, s[2:3]
	s_cbranch_vccnz .LBB20_797
; %bb.789:
	v_mov_b32_e32 v1, 6
	v_cmp_lt_i16_sdwa s[4:5], v10, v1 src0_sel:BYTE_0 src1_sel:DWORD
	s_mov_b64 s[2:3], -1
	s_and_b64 vcc, exec, s[4:5]
	s_cbranch_vccnz .LBB20_795
; %bb.790:
	v_cmp_gt_i16_sdwa s[4:5], v10, v1 src0_sel:BYTE_0 src1_sel:DWORD
	s_and_b64 vcc, exec, s[4:5]
	s_cbranch_vccz .LBB20_792
; %bb.791:
	v_cvt_f64_f32_e32 v[4:5], v0
	s_mov_b64 s[2:3], 0
	global_store_dwordx2 v[2:3], v[4:5], off
.LBB20_792:
	s_andn2_b64 vcc, exec, s[2:3]
	s_cbranch_vccnz .LBB20_794
; %bb.793:
	global_store_dword v[2:3], v0, off
.LBB20_794:
	s_mov_b64 s[2:3], 0
.LBB20_795:
	s_andn2_b64 vcc, exec, s[2:3]
	s_cbranch_vccnz .LBB20_797
; %bb.796:
	v_cvt_f16_f32_e32 v1, v0
	global_store_short v[2:3], v1, off
.LBB20_797:
	s_mov_b64 s[2:3], 0
.LBB20_798:
	s_andn2_b64 vcc, exec, s[2:3]
	s_cbranch_vccnz .LBB20_814
; %bb.799:
	v_mov_b32_e32 v1, 2
	v_cmp_lt_i16_sdwa s[4:5], v10, v1 src0_sel:BYTE_0 src1_sel:DWORD
	s_mov_b64 s[2:3], -1
	s_and_b64 vcc, exec, s[4:5]
	s_cbranch_vccnz .LBB20_809
; %bb.800:
	v_mov_b32_e32 v1, 3
	v_cmp_lt_i16_sdwa s[4:5], v10, v1 src0_sel:BYTE_0 src1_sel:DWORD
	s_and_b64 vcc, exec, s[4:5]
	s_cbranch_vccnz .LBB20_806
; %bb.801:
	v_cmp_gt_i16_sdwa s[4:5], v10, v1 src0_sel:BYTE_0 src1_sel:DWORD
	s_and_b64 vcc, exec, s[4:5]
	s_cbranch_vccz .LBB20_803
; %bb.802:
	v_trunc_f32_e32 v1, v0
	s_mov_b32 s2, 0x2f800000
	v_mul_f32_e64 v4, |v1|, s2
	v_floor_f32_e32 v4, v4
	s_mov_b32 s2, 0xcf800000
	v_cvt_u32_f32_e32 v5, v4
	v_fma_f32 v4, v4, s2, |v1|
	v_cvt_u32_f32_e32 v4, v4
	v_ashrrev_i32_e32 v1, 31, v1
	v_xor_b32_e32 v5, v5, v1
	s_mov_b64 s[2:3], 0
	v_xor_b32_e32 v4, v4, v1
	v_sub_co_u32_e32 v4, vcc, v4, v1
	v_subb_co_u32_e32 v5, vcc, v5, v1, vcc
	global_store_dwordx2 v[2:3], v[4:5], off
.LBB20_803:
	s_andn2_b64 vcc, exec, s[2:3]
	s_cbranch_vccnz .LBB20_805
; %bb.804:
	v_cvt_i32_f32_e32 v1, v0
	global_store_dword v[2:3], v1, off
.LBB20_805:
	s_mov_b64 s[2:3], 0
.LBB20_806:
	s_andn2_b64 vcc, exec, s[2:3]
	s_cbranch_vccnz .LBB20_808
; %bb.807:
	v_cvt_i32_f32_e32 v1, v0
	global_store_short v[2:3], v1, off
.LBB20_808:
	s_mov_b64 s[2:3], 0
.LBB20_809:
	s_andn2_b64 vcc, exec, s[2:3]
	s_cbranch_vccnz .LBB20_814
; %bb.810:
	v_mov_b32_e32 v1, 0
	v_cmp_gt_i16_sdwa s[4:5], v10, v1 src0_sel:BYTE_0 src1_sel:DWORD
	s_mov_b64 s[2:3], -1
	s_and_b64 vcc, exec, s[4:5]
	s_cbranch_vccz .LBB20_812
; %bb.811:
	v_cvt_i32_f32_e32 v1, v0
	s_mov_b64 s[2:3], 0
	global_store_byte v[2:3], v1, off
.LBB20_812:
	s_andn2_b64 vcc, exec, s[2:3]
	s_cbranch_vccnz .LBB20_814
; %bb.813:
	v_trunc_f32_e32 v0, v0
	s_mov_b32 s2, 0x2f800000
	v_mul_f32_e64 v1, |v0|, s2
	v_floor_f32_e32 v1, v1
	s_mov_b32 s2, 0xcf800000
	v_fma_f32 v1, v1, s2, |v0|
	v_cvt_u32_f32_e32 v1, v1
	v_ashrrev_i32_e32 v0, 31, v0
	v_xor_b32_e32 v1, v1, v0
	v_sub_u32_e32 v0, v1, v0
	global_store_byte v[2:3], v0, off
.LBB20_814:
	s_mov_b64 s[2:3], -1
.LBB20_815:
	s_andn2_b64 vcc, exec, s[2:3]
	s_cbranch_vccnz .LBB20_817
; %bb.816:
	v_add_u32_e32 v9, 0x80, v9
	s_mov_b64 s[4:5], -1
	s_branch .LBB20_818
.LBB20_817:
	s_mov_b64 s[4:5], 0
                                        ; implicit-def: $vgpr9
.LBB20_818:
	s_andn2_b64 s[2:3], s[24:25], exec
	s_and_b64 s[0:1], s[0:1], exec
	s_or_b64 s[2:3], s[2:3], s[0:1]
	s_andn2_b64 s[0:1], s[22:23], exec
	s_and_b64 s[30:31], s[30:31], exec
	s_or_b64 s[0:1], s[0:1], s[30:31]
	s_orn2_b64 s[34:35], s[4:5], exec
.LBB20_819:
	s_or_b64 exec, exec, s[28:29]
	s_mov_b64 s[30:31], 0
	s_mov_b64 s[36:37], 0
	;; [unrolled: 1-line block ×3, first 2 shown]
                                        ; implicit-def: $vgpr0_vgpr1
                                        ; implicit-def: $vgpr5
	s_and_saveexec_b64 s[4:5], s[34:35]
	s_cbranch_execz .LBB20_904
; %bb.820:
	v_cmp_gt_i32_e32 vcc, s33, v9
	s_mov_b64 s[34:35], 0
	s_mov_b64 s[38:39], s[0:1]
	;; [unrolled: 1-line block ×3, first 2 shown]
                                        ; implicit-def: $vgpr0_vgpr1
                                        ; implicit-def: $vgpr5
	s_and_saveexec_b64 s[28:29], vcc
	s_cbranch_execz .LBB20_903
; %bb.821:
	v_mul_lo_u32 v0, v9, s13
	v_ashrrev_i32_e32 v1, 31, v0
	s_waitcnt vmcnt(0)
	v_mov_b32_e32 v2, s11
	v_add_co_u32_e32 v0, vcc, s10, v0
	v_addc_co_u32_e32 v1, vcc, v2, v1, vcc
	v_cmp_gt_i16_e32 vcc, 11, v8
	s_cbranch_vccnz .LBB20_828
; %bb.822:
	v_cmp_lt_i16_e32 vcc, 25, v8
	s_cbranch_vccz .LBB20_829
; %bb.823:
	v_cmp_lt_i16_e32 vcc, 28, v8
	s_cbranch_vccz .LBB20_830
; %bb.824:
	v_cmp_lt_i16_e32 vcc, 43, v8
	s_cbranch_vccz .LBB20_831
; %bb.825:
	v_cmp_lt_i16_e32 vcc, 45, v8
	s_cbranch_vccz .LBB20_834
; %bb.826:
	v_cmp_eq_u16_e32 vcc, 46, v8
	s_mov_b64 s[38:39], 0
	s_cbranch_vccz .LBB20_837
; %bb.827:
	global_load_dword v2, v[0:1], off
	s_mov_b64 s[36:37], -1
	s_waitcnt vmcnt(0)
	v_lshlrev_b32_e32 v5, 16, v2
	s_branch .LBB20_839
.LBB20_828:
	s_mov_b64 s[38:39], -1
                                        ; implicit-def: $vgpr5
	s_mov_b64 s[30:31], s[0:1]
	s_branch .LBB20_902
.LBB20_829:
	s_mov_b64 s[38:39], -1
	s_mov_b64 s[30:31], s[0:1]
                                        ; implicit-def: $vgpr5
	s_branch .LBB20_868
.LBB20_830:
	s_mov_b64 s[38:39], -1
	s_mov_b64 s[30:31], s[0:1]
                                        ; implicit-def: $vgpr5
	s_branch .LBB20_849
.LBB20_831:
	s_mov_b64 s[38:39], -1
	s_mov_b64 s[30:31], s[0:1]
                                        ; implicit-def: $vgpr5
	s_branch .LBB20_844
.LBB20_832:
	s_or_saveexec_b64 s[34:35], s[34:35]
                                        ; implicit-def: $sgpr36
	s_xor_b64 exec, exec, s[34:35]
	s_cbranch_execz .LBB20_728
.LBB20_833:
	s_mov_b32 s36, 0x46000000
	v_add_f32_e64 v1, |v0|, s36
	v_and_b32_e32 v1, 0xff, v1
	v_cmp_ne_u32_e32 vcc, 0, v1
	s_andn2_b64 s[4:5], s[4:5], exec
	s_and_b64 s[38:39], vcc, exec
	s_mov_b32 s36, 0
	s_or_b64 s[4:5], s[4:5], s[38:39]
	s_or_b64 exec, exec, s[34:35]
	v_mov_b32_e32 v4, s36
	s_and_saveexec_b64 s[34:35], s[4:5]
	s_cbranch_execnz .LBB20_729
	s_branch .LBB20_730
.LBB20_834:
	s_mov_b64 s[38:39], -1
	s_mov_b64 s[30:31], s[0:1]
	s_branch .LBB20_838
.LBB20_835:
	s_or_saveexec_b64 s[34:35], s[34:35]
                                        ; implicit-def: $sgpr36
	s_xor_b64 exec, exec, s[34:35]
	s_cbranch_execz .LBB20_741
.LBB20_836:
	s_mov_b32 s36, 0x42800000
	v_add_f32_e64 v1, |v0|, s36
	v_and_b32_e32 v1, 0xff, v1
	v_cmp_ne_u32_e32 vcc, 0, v1
	s_andn2_b64 s[4:5], s[4:5], exec
	s_and_b64 s[38:39], vcc, exec
	s_mov_b32 s36, 0
	s_or_b64 s[4:5], s[4:5], s[38:39]
	s_or_b64 exec, exec, s[34:35]
	v_mov_b32_e32 v4, s36
	s_and_saveexec_b64 s[34:35], s[4:5]
	s_cbranch_execnz .LBB20_742
	s_branch .LBB20_743
.LBB20_837:
	s_mov_b64 s[30:31], -1
.LBB20_838:
                                        ; implicit-def: $vgpr5
.LBB20_839:
	s_and_b64 vcc, exec, s[38:39]
	s_cbranch_vccz .LBB20_843
; %bb.840:
	v_cmp_eq_u16_e32 vcc, 44, v8
	s_cbranch_vccz .LBB20_842
; %bb.841:
	global_load_ubyte v2, v[0:1], off
	s_movk_i32 s33, 0xff
	v_mov_b32_e32 v3, 0x7f800001
	v_mov_b32_e32 v4, 0x400000
	s_mov_b64 s[30:31], 0
	s_mov_b64 s[36:37], -1
	s_waitcnt vmcnt(0)
	v_lshlrev_b32_e32 v5, 23, v2
	v_cmp_ne_u32_e32 vcc, s33, v2
	v_cndmask_b32_e32 v3, v3, v5, vcc
	v_cmp_ne_u32_e32 vcc, 0, v2
	v_cndmask_b32_e32 v5, v4, v3, vcc
	s_branch .LBB20_843
.LBB20_842:
	s_mov_b64 s[30:31], -1
                                        ; implicit-def: $vgpr5
.LBB20_843:
	s_mov_b64 s[38:39], 0
.LBB20_844:
	s_and_b64 vcc, exec, s[38:39]
	s_cbranch_vccz .LBB20_848
; %bb.845:
	v_cmp_eq_u16_e32 vcc, 29, v8
	s_cbranch_vccz .LBB20_847
; %bb.846:
	global_load_dwordx2 v[2:3], v[0:1], off
	s_mov_b64 s[30:31], 0
	s_mov_b64 s[36:37], -1
	s_mov_b64 s[38:39], 0
	s_waitcnt vmcnt(0)
	v_ffbh_u32_e32 v4, v3
	v_min_u32_e32 v4, 32, v4
	v_lshlrev_b64 v[2:3], v4, v[2:3]
	v_min_u32_e32 v2, 1, v2
	v_or_b32_e32 v2, v3, v2
	v_cvt_f32_u32_e32 v2, v2
	v_sub_u32_e32 v3, 32, v4
	v_ldexp_f32 v5, v2, v3
	s_branch .LBB20_849
.LBB20_847:
	s_mov_b64 s[30:31], -1
                                        ; implicit-def: $vgpr5
.LBB20_848:
	s_mov_b64 s[38:39], 0
.LBB20_849:
	s_and_b64 vcc, exec, s[38:39]
	s_cbranch_vccz .LBB20_867
; %bb.850:
	v_cmp_gt_i16_e32 vcc, 27, v8
	s_cbranch_vccnz .LBB20_853
; %bb.851:
	v_cmp_lt_i16_e32 vcc, 27, v8
	s_cbranch_vccz .LBB20_854
; %bb.852:
	global_load_dword v2, v[0:1], off
	s_mov_b64 s[36:37], 0
	s_waitcnt vmcnt(0)
	v_cvt_f32_u32_e32 v5, v2
	s_branch .LBB20_855
.LBB20_853:
	s_mov_b64 s[36:37], -1
                                        ; implicit-def: $vgpr5
	s_branch .LBB20_858
.LBB20_854:
	s_mov_b64 s[36:37], -1
                                        ; implicit-def: $vgpr5
.LBB20_855:
	s_andn2_b64 vcc, exec, s[36:37]
	s_cbranch_vccnz .LBB20_857
; %bb.856:
	global_load_ushort v2, v[0:1], off
	s_waitcnt vmcnt(0)
	v_cvt_f32_u32_e32 v5, v2
.LBB20_857:
	s_mov_b64 s[36:37], 0
.LBB20_858:
	s_andn2_b64 vcc, exec, s[36:37]
	s_cbranch_vccnz .LBB20_866
; %bb.859:
	global_load_ubyte v2, v[0:1], off
	s_movk_i32 s33, 0x7f
	s_mov_b64 s[36:37], 0
	s_waitcnt vmcnt(0)
	v_cmp_lt_i16_e32 vcc, s33, v2
                                        ; implicit-def: $sgpr33
	s_and_saveexec_b64 s[38:39], vcc
	s_xor_b64 s[38:39], exec, s[38:39]
	s_cbranch_execz .LBB20_880
; %bb.860:
	s_movk_i32 s33, 0x80
	v_cmp_eq_u16_e32 vcc, s33, v2
	s_mov_b64 s[36:37], -1
                                        ; implicit-def: $sgpr33
	s_and_saveexec_b64 s[40:41], vcc
; %bb.861:
	s_mov_b32 s33, 0x7f800001
	s_xor_b64 s[36:37], exec, -1
; %bb.862:
	s_or_b64 exec, exec, s[40:41]
	s_and_b64 s[36:37], s[36:37], exec
	s_or_saveexec_b64 s[38:39], s[38:39]
	v_mov_b32_e32 v5, s33
	s_xor_b64 exec, exec, s[38:39]
	s_cbranch_execnz .LBB20_881
.LBB20_863:
	s_or_b64 exec, exec, s[38:39]
	s_and_saveexec_b64 s[38:39], s[36:37]
	s_cbranch_execz .LBB20_865
.LBB20_864:
	v_lshlrev_b32_e32 v3, 24, v2
	v_and_b32_e32 v2, 0xffff, v2
	v_and_b32_e32 v4, 7, v2
	v_ffbh_u32_e32 v6, v4
	v_min_u32_e32 v6, 32, v6
	v_subrev_u32_e32 v7, 28, v6
	v_bfe_u32 v5, v2, 3, 4
	v_lshlrev_b32_e32 v2, v7, v2
	v_sub_u32_e32 v6, 29, v6
	v_and_b32_e32 v2, 7, v2
	v_cmp_eq_u32_e32 vcc, 0, v5
	v_cndmask_b32_e32 v5, v5, v6, vcc
	v_cndmask_b32_e32 v2, v4, v2, vcc
	v_mov_b32_e32 v4, 0x3b800000
	v_lshlrev_b32_e32 v2, 20, v2
	v_and_b32_e32 v3, 0x80000000, v3
	v_lshl_add_u32 v4, v5, 23, v4
	v_or3_b32 v5, v3, v4, v2
.LBB20_865:
	s_or_b64 exec, exec, s[38:39]
.LBB20_866:
	s_mov_b64 s[36:37], -1
.LBB20_867:
	s_mov_b64 s[38:39], 0
.LBB20_868:
	s_and_b64 vcc, exec, s[38:39]
	s_cbranch_vccz .LBB20_901
; %bb.869:
	v_cmp_lt_i16_e32 vcc, 22, v8
	s_cbranch_vccz .LBB20_879
; %bb.870:
	v_cmp_gt_i16_e32 vcc, 24, v8
	s_cbranch_vccnz .LBB20_882
; %bb.871:
	v_cmp_lt_i16_e32 vcc, 24, v8
	s_cbranch_vccz .LBB20_883
; %bb.872:
	global_load_ubyte v2, v[0:1], off
	s_movk_i32 s33, 0x7f
	s_waitcnt vmcnt(0)
	v_cmp_lt_i16_e32 vcc, s33, v2
                                        ; implicit-def: $sgpr33
	s_and_saveexec_b64 s[36:37], vcc
	s_xor_b64 s[36:37], exec, s[36:37]
	s_cbranch_execz .LBB20_895
; %bb.873:
	s_movk_i32 s33, 0x80
	v_cmp_eq_u16_e32 vcc, s33, v2
	s_mov_b64 s[34:35], -1
                                        ; implicit-def: $sgpr33
	s_and_saveexec_b64 s[38:39], vcc
; %bb.874:
	s_mov_b32 s33, 0x7f800001
	s_xor_b64 s[34:35], exec, -1
; %bb.875:
	s_or_b64 exec, exec, s[38:39]
	s_and_b64 s[34:35], s[34:35], exec
	s_or_saveexec_b64 s[36:37], s[36:37]
	v_mov_b32_e32 v5, s33
	s_xor_b64 exec, exec, s[36:37]
	s_cbranch_execnz .LBB20_896
.LBB20_876:
	s_or_b64 exec, exec, s[36:37]
	s_and_saveexec_b64 s[36:37], s[34:35]
	s_cbranch_execz .LBB20_878
.LBB20_877:
	v_lshlrev_b32_e32 v3, 24, v2
	v_and_b32_e32 v2, 0xffff, v2
	v_and_b32_e32 v4, 3, v2
	v_ffbh_u32_e32 v6, v4
	v_min_u32_e32 v6, 32, v6
	v_subrev_u32_e32 v7, 29, v6
	v_bfe_u32 v5, v2, 2, 5
	v_lshlrev_b32_e32 v2, v7, v2
	v_sub_u32_e32 v6, 30, v6
	v_and_b32_e32 v2, 3, v2
	v_cmp_eq_u32_e32 vcc, 0, v5
	v_cndmask_b32_e32 v5, v5, v6, vcc
	v_cndmask_b32_e32 v2, v4, v2, vcc
	v_mov_b32_e32 v4, 0x37800000
	v_lshlrev_b32_e32 v2, 21, v2
	v_and_b32_e32 v3, 0x80000000, v3
	v_lshl_add_u32 v4, v5, 23, v4
	v_or3_b32 v5, v3, v4, v2
.LBB20_878:
	s_or_b64 exec, exec, s[36:37]
	s_mov_b64 s[34:35], 0
	s_branch .LBB20_884
.LBB20_879:
	s_mov_b64 s[34:35], -1
                                        ; implicit-def: $vgpr5
	s_branch .LBB20_890
.LBB20_880:
	s_or_saveexec_b64 s[38:39], s[38:39]
	v_mov_b32_e32 v5, s33
	s_xor_b64 exec, exec, s[38:39]
	s_cbranch_execz .LBB20_863
.LBB20_881:
	v_cmp_ne_u16_e32 vcc, 0, v2
	s_andn2_b64 s[36:37], s[36:37], exec
	s_and_b64 s[40:41], vcc, exec
	v_mov_b32_e32 v5, 0
	s_or_b64 s[36:37], s[36:37], s[40:41]
	s_or_b64 exec, exec, s[38:39]
	s_and_saveexec_b64 s[38:39], s[36:37]
	s_cbranch_execnz .LBB20_864
	s_branch .LBB20_865
.LBB20_882:
	s_mov_b64 s[34:35], -1
                                        ; implicit-def: $vgpr5
	s_branch .LBB20_887
.LBB20_883:
	s_mov_b64 s[34:35], -1
                                        ; implicit-def: $vgpr5
.LBB20_884:
	s_and_b64 vcc, exec, s[34:35]
	s_cbranch_vccz .LBB20_886
; %bb.885:
	global_load_ubyte v2, v[0:1], off
	s_mov_b32 s33, 0x7f800000
	s_waitcnt vmcnt(0)
	v_lshlrev_b32_e32 v2, 24, v2
	v_and_b32_e32 v3, 0x7f000000, v2
	v_ffbh_u32_e32 v4, v3
	v_min_u32_e32 v4, 32, v4
	v_sub_u32_e64 v4, v4, 4 clamp
	v_lshlrev_b32_e32 v6, v4, v3
	v_lshlrev_b32_e32 v4, 23, v4
	v_lshrrev_b32_e32 v6, 4, v6
	v_add_u32_e32 v5, 0x1000000, v3
	v_sub_u32_e32 v4, v6, v4
	v_ashrrev_i32_e32 v5, 8, v5
	v_add_u32_e32 v4, 0x3c000000, v4
	v_and_or_b32 v4, v5, s33, v4
	v_cmp_ne_u32_e32 vcc, 0, v3
	v_cndmask_b32_e32 v3, 0, v4, vcc
	s_brev_b32 s33, 1
	v_and_or_b32 v5, v2, s33, v3
.LBB20_886:
	s_mov_b64 s[34:35], 0
.LBB20_887:
	s_andn2_b64 vcc, exec, s[34:35]
	s_cbranch_vccnz .LBB20_889
; %bb.888:
	global_load_ubyte v2, v[0:1], off
	s_movk_i32 s33, 0x7f00
	s_brev_b32 s34, 16
	s_waitcnt vmcnt(0)
	v_lshlrev_b16_e32 v3, 8, v2
	v_lshlrev_b32_e32 v2, 25, v2
	v_lshrrev_b32_e32 v4, 4, v2
	v_and_or_b32 v5, v3, s33, 0.5
	v_or_b32_e32 v4, 0x70000000, v4
	v_add_f32_e32 v5, -0.5, v5
	v_mul_f32_e32 v4, 0x7800000, v4
	v_cmp_gt_u32_e32 vcc, s34, v2
	v_bfe_i32 v3, v3, 0, 16
	v_cndmask_b32_e32 v2, v4, v5, vcc
	s_brev_b32 s33, 1
	v_and_or_b32 v5, v3, s33, v2
.LBB20_889:
	s_mov_b64 s[34:35], 0
	s_mov_b64 s[36:37], -1
.LBB20_890:
	s_andn2_b64 vcc, exec, s[34:35]
	s_mov_b64 s[34:35], 0
	s_cbranch_vccnz .LBB20_901
; %bb.891:
	v_cmp_lt_i16_e32 vcc, 14, v8
	s_cbranch_vccz .LBB20_894
; %bb.892:
	v_cmp_eq_u16_e32 vcc, 15, v8
	s_cbranch_vccz .LBB20_897
; %bb.893:
	global_load_ushort v2, v[0:1], off
	s_mov_b64 s[30:31], 0
	s_mov_b64 s[36:37], -1
	s_waitcnt vmcnt(0)
	v_lshlrev_b32_e32 v5, 16, v2
	s_branch .LBB20_898
.LBB20_894:
	s_mov_b64 s[38:39], -1
                                        ; implicit-def: $vgpr5
	s_branch .LBB20_899
.LBB20_895:
	s_or_saveexec_b64 s[36:37], s[36:37]
	v_mov_b32_e32 v5, s33
	s_xor_b64 exec, exec, s[36:37]
	s_cbranch_execz .LBB20_876
.LBB20_896:
	v_cmp_ne_u16_e32 vcc, 0, v2
	s_andn2_b64 s[34:35], s[34:35], exec
	s_and_b64 s[38:39], vcc, exec
	v_mov_b32_e32 v5, 0
	s_or_b64 s[34:35], s[34:35], s[38:39]
	s_or_b64 exec, exec, s[36:37]
	s_and_saveexec_b64 s[36:37], s[34:35]
	s_cbranch_execnz .LBB20_877
	s_branch .LBB20_878
.LBB20_897:
	s_mov_b64 s[30:31], -1
                                        ; implicit-def: $vgpr5
.LBB20_898:
	s_mov_b64 s[38:39], 0
.LBB20_899:
	s_and_b64 vcc, exec, s[38:39]
	s_cbranch_vccz .LBB20_901
; %bb.900:
	v_cmp_ne_u16_e32 vcc, 11, v8
	s_andn2_b64 s[30:31], s[30:31], exec
	s_and_b64 s[38:39], vcc, exec
	s_mov_b64 s[34:35], -1
	s_or_b64 s[30:31], s[30:31], s[38:39]
                                        ; implicit-def: $vgpr5
.LBB20_901:
	s_mov_b64 s[38:39], 0
.LBB20_902:
	s_and_b64 s[40:41], s[36:37], exec
	s_and_b64 s[36:37], s[38:39], exec
	s_andn2_b64 s[38:39], s[0:1], exec
	s_and_b64 s[30:31], s[30:31], exec
	s_and_b64 s[34:35], s[34:35], exec
	s_or_b64 s[38:39], s[38:39], s[30:31]
.LBB20_903:
	s_or_b64 exec, exec, s[28:29]
	s_and_b64 s[30:31], s[34:35], exec
	s_andn2_b64 s[0:1], s[0:1], exec
	s_and_b64 s[34:35], s[38:39], exec
	s_and_b64 s[28:29], s[40:41], exec
	;; [unrolled: 1-line block ×3, first 2 shown]
	s_or_b64 s[0:1], s[0:1], s[34:35]
.LBB20_904:
	s_or_b64 exec, exec, s[4:5]
	s_andn2_b64 s[4:5], s[24:25], exec
	s_and_b64 s[2:3], s[2:3], exec
	s_andn2_b64 s[22:23], s[22:23], exec
	s_and_b64 s[0:1], s[0:1], exec
	s_or_b64 s[24:25], s[4:5], s[2:3]
	s_and_b64 s[28:29], s[28:29], exec
	s_and_b64 s[4:5], s[36:37], exec
	;; [unrolled: 1-line block ×3, first 2 shown]
	s_or_b64 s[22:23], s[22:23], s[0:1]
.LBB20_905:
	s_or_b64 exec, exec, s[26:27]
	s_andn2_b64 s[0:1], s[16:17], exec
	s_and_b64 s[16:17], s[24:25], exec
	s_and_b64 s[24:25], s[2:3], exec
	s_andn2_b64 s[2:3], s[18:19], exec
	s_and_b64 s[18:19], s[22:23], exec
	s_or_b64 s[16:17], s[0:1], s[16:17]
	s_and_b64 s[0:1], s[28:29], exec
	s_and_b64 s[4:5], s[4:5], exec
	s_or_b64 s[18:19], s[2:3], s[18:19]
	s_or_b64 exec, exec, s[20:21]
	s_mov_b64 s[20:21], 0
	s_and_saveexec_b64 s[2:3], s[18:19]
	s_cbranch_execz .LBB20_277
.LBB20_906:
	s_mov_b64 s[20:21], exec
	s_andn2_b64 s[24:25], s[24:25], exec
	s_trap 2
                                        ; implicit-def: $vgpr5
	s_or_b64 exec, exec, s[2:3]
	s_and_saveexec_b64 s[2:3], s[24:25]
	s_xor_b64 s[2:3], exec, s[2:3]
	s_cbranch_execnz .LBB20_278
.LBB20_907:
	s_or_b64 exec, exec, s[2:3]
	s_and_saveexec_b64 s[2:3], s[4:5]
	s_cbranch_execz .LBB20_953
.LBB20_908:
	v_cmp_gt_i16_e32 vcc, 5, v8
	s_cbranch_vccnz .LBB20_913
; %bb.909:
	v_cmp_gt_i16_e32 vcc, 8, v8
	s_cbranch_vccnz .LBB20_914
; %bb.910:
	;; [unrolled: 3-line block ×3, first 2 shown]
	v_cmp_lt_i16_e32 vcc, 9, v8
	s_cbranch_vccz .LBB20_916
; %bb.912:
	global_load_dwordx2 v[2:3], v[0:1], off
	s_mov_b64 s[4:5], 0
	s_waitcnt vmcnt(0)
	v_cvt_f32_f64_e32 v5, v[2:3]
	s_branch .LBB20_917
.LBB20_913:
                                        ; implicit-def: $vgpr5
	s_branch .LBB20_934
.LBB20_914:
                                        ; implicit-def: $vgpr5
	s_branch .LBB20_923
.LBB20_915:
	s_mov_b64 s[4:5], -1
                                        ; implicit-def: $vgpr5
	s_branch .LBB20_920
.LBB20_916:
	s_mov_b64 s[4:5], -1
                                        ; implicit-def: $vgpr5
.LBB20_917:
	s_andn2_b64 vcc, exec, s[4:5]
	s_cbranch_vccnz .LBB20_919
; %bb.918:
	global_load_dword v5, v[0:1], off
.LBB20_919:
	s_mov_b64 s[4:5], 0
.LBB20_920:
	s_andn2_b64 vcc, exec, s[4:5]
	s_cbranch_vccnz .LBB20_922
; %bb.921:
	global_load_dword v2, v[0:1], off
	s_waitcnt vmcnt(0)
	v_cvt_f32_f16_e32 v5, v2
.LBB20_922:
	s_cbranch_execnz .LBB20_933
.LBB20_923:
	v_cmp_gt_i16_e32 vcc, 6, v8
	s_cbranch_vccnz .LBB20_926
; %bb.924:
	v_cmp_lt_i16_e32 vcc, 6, v8
	s_cbranch_vccz .LBB20_927
; %bb.925:
	global_load_dwordx2 v[2:3], v[0:1], off
	s_mov_b64 s[4:5], 0
	s_waitcnt vmcnt(0)
	v_cvt_f32_f64_e32 v5, v[2:3]
	s_branch .LBB20_928
.LBB20_926:
	s_mov_b64 s[4:5], -1
                                        ; implicit-def: $vgpr5
	s_branch .LBB20_931
.LBB20_927:
	s_mov_b64 s[4:5], -1
                                        ; implicit-def: $vgpr5
.LBB20_928:
	s_andn2_b64 vcc, exec, s[4:5]
	s_cbranch_vccnz .LBB20_930
; %bb.929:
	global_load_dword v5, v[0:1], off
.LBB20_930:
	s_mov_b64 s[4:5], 0
.LBB20_931:
	s_andn2_b64 vcc, exec, s[4:5]
	s_cbranch_vccnz .LBB20_933
; %bb.932:
	global_load_ushort v2, v[0:1], off
	s_waitcnt vmcnt(0)
	v_cvt_f32_f16_e32 v5, v2
.LBB20_933:
	s_cbranch_execnz .LBB20_952
.LBB20_934:
	v_cmp_gt_i16_e32 vcc, 2, v8
	s_cbranch_vccnz .LBB20_938
; %bb.935:
	v_cmp_gt_i16_e32 vcc, 3, v8
	s_cbranch_vccnz .LBB20_939
; %bb.936:
	v_cmp_lt_i16_e32 vcc, 3, v8
	s_cbranch_vccz .LBB20_940
; %bb.937:
	global_load_dwordx2 v[2:3], v[0:1], off
	s_mov_b64 s[4:5], 0
	s_waitcnt vmcnt(0)
	v_xor_b32_e32 v5, v2, v3
	v_ffbh_i32_e32 v4, v3
	v_ashrrev_i32_e32 v5, 31, v5
	v_add_u32_e32 v4, -1, v4
	v_add_u32_e32 v5, 32, v5
	v_min_u32_e32 v4, v4, v5
	v_lshlrev_b64 v[2:3], v4, v[2:3]
	v_min_u32_e32 v2, 1, v2
	v_or_b32_e32 v2, v3, v2
	v_cvt_f32_i32_e32 v2, v2
	v_sub_u32_e32 v3, 32, v4
	v_ldexp_f32 v5, v2, v3
	s_branch .LBB20_941
.LBB20_938:
                                        ; implicit-def: $vgpr5
	s_branch .LBB20_947
.LBB20_939:
	s_mov_b64 s[4:5], -1
                                        ; implicit-def: $vgpr5
	s_branch .LBB20_944
.LBB20_940:
	s_mov_b64 s[4:5], -1
                                        ; implicit-def: $vgpr5
.LBB20_941:
	s_andn2_b64 vcc, exec, s[4:5]
	s_cbranch_vccnz .LBB20_943
; %bb.942:
	global_load_dword v2, v[0:1], off
	s_waitcnt vmcnt(0)
	v_cvt_f32_i32_e32 v5, v2
.LBB20_943:
	s_mov_b64 s[4:5], 0
.LBB20_944:
	s_andn2_b64 vcc, exec, s[4:5]
	s_cbranch_vccnz .LBB20_946
; %bb.945:
	global_load_sshort v2, v[0:1], off
	s_waitcnt vmcnt(0)
	v_cvt_f32_i32_e32 v5, v2
.LBB20_946:
	s_cbranch_execnz .LBB20_952
.LBB20_947:
	v_cmp_lt_i16_e32 vcc, 0, v8
	s_cbranch_vccz .LBB20_949
; %bb.948:
	global_load_sbyte v2, v[0:1], off
	s_mov_b64 s[4:5], 0
	s_waitcnt vmcnt(0)
	v_cvt_f32_i32_e32 v5, v2
	s_branch .LBB20_950
.LBB20_949:
	s_mov_b64 s[4:5], -1
                                        ; implicit-def: $vgpr5
.LBB20_950:
	s_andn2_b64 vcc, exec, s[4:5]
	s_cbranch_vccnz .LBB20_952
; %bb.951:
	global_load_ubyte v0, v[0:1], off
	s_waitcnt vmcnt(0)
	v_cvt_f32_ubyte0_e32 v5, v0
.LBB20_952:
	s_or_b64 s[0:1], s[0:1], exec
.LBB20_953:
	s_or_b64 exec, exec, s[2:3]
	s_mov_b64 s[4:5], 0
	s_mov_b64 s[2:3], 0
                                        ; implicit-def: $vgpr4
                                        ; implicit-def: $vgpr2_vgpr3
                                        ; implicit-def: $vgpr0
	s_and_saveexec_b64 s[18:19], s[0:1]
	s_cbranch_execz .LBB20_963
; %bb.954:
	s_waitcnt vmcnt(0)
	v_cmp_gt_f32_e32 vcc, 0, v5
	v_cndmask_b32_e64 v1, v5, -v5, vcc
	s_mov_b32 s0, 0x40a00000
	v_cmp_ge_f32_e32 vcc, s0, v1
	v_mul_f32_e32 v2, v1, v1
                                        ; implicit-def: $vgpr0
	s_and_saveexec_b64 s[0:1], vcc
	s_xor_b64 s[0:1], exec, s[0:1]
	s_cbranch_execz .LBB20_960
; %bb.955:
	s_mov_b32 s2, 0x3727c5ac
	v_cmp_ngt_f32_e32 vcc, s2, v1
                                        ; implicit-def: $vgpr0
	s_and_saveexec_b64 s[2:3], vcc
	s_xor_b64 s[2:3], exec, s[2:3]
	s_cbranch_execz .LBB20_957
; %bb.956:
	v_mov_b32_e32 v1, 0x43f9c815
	v_fmac_f32_e32 v1, 0, v2
	v_mov_b32_e32 v3, 0x4829b65a
	v_fmac_f32_e32 v3, v2, v1
	;; [unrolled: 2-line block ×4, first 2 shown]
	s_mov_b32 s4, 0xcf8ee29d
	v_mul_f32_e32 v0, 0, v2
	v_mul_f32_e32 v1, v2, v3
	s_mov_b32 s5, 0x53f5f59c
	v_pk_add_f32 v[0:1], v[0:1], s[4:5]
	s_mov_b32 s4, 0x53e3ba8e
	s_mov_b32 s5, 0x578d3514
	v_pk_fma_f32 v[0:1], v[2:3], v[0:1], s[4:5] op_sel_hi:[0,1,1]
	s_mov_b32 s4, 0xd762b0a7
	s_mov_b32 s5, 0x5ae20a0c
	v_pk_fma_f32 v[0:1], v[2:3], v[0:1], s[4:5] op_sel_hi:[0,1,1]
	;; [unrolled: 3-line block ×3, first 2 shown]
	s_mov_b32 s4, 0xc0b90fdc
	s_mov_b32 s5, 0xc1f3c525
	v_pk_add_f32 v[2:3], v[2:3], s[4:5] op_sel_hi:[0,1]
	v_mul_f32_e32 v2, v2, v3
	v_mul_f32_e32 v0, v2, v0
	v_div_scale_f32 v2, s[4:5], v1, v1, v0
	v_rcp_f32_e32 v3, v2
	v_fma_f32 v4, -v2, v3, 1.0
	v_fmac_f32_e32 v3, v4, v3
	v_div_scale_f32 v4, vcc, v0, v1, v0
	v_mul_f32_e32 v5, v4, v3
	v_fma_f32 v6, -v2, v5, v4
	v_fmac_f32_e32 v5, v6, v3
	v_fma_f32 v2, -v2, v5, v4
	v_div_fmas_f32 v2, v2, v3, v5
	v_div_fixup_f32 v0, v2, v1, v0
                                        ; implicit-def: $vgpr2
.LBB20_957:
	s_andn2_saveexec_b64 s[2:3], s[2:3]
; %bb.958:
	s_mov_b32 s4, 0xbe800000
	v_fma_f32 v0, v2, s4, 1.0
; %bb.959:
	s_or_b64 exec, exec, s[2:3]
                                        ; implicit-def: $vgpr2
                                        ; implicit-def: $vgpr1
.LBB20_960:
	s_andn2_saveexec_b64 s[22:23], s[0:1]
	s_cbranch_execz .LBB20_973
; %bb.961:
	v_add_f32_e32 v0, 0xbf490fdb, v1
	v_and_b32_e32 v3, 0x7fffffff, v0
	s_brev_b32 s0, 18
	v_cmp_nlt_f32_e64 s[24:25], |v0|, s0
	v_lshrrev_b32_e32 v8, 23, v3
                                        ; implicit-def: $vgpr4
                                        ; implicit-def: $vgpr5
	s_and_saveexec_b64 s[0:1], s[24:25]
	s_xor_b64 s[26:27], exec, s[0:1]
	s_cbranch_execz .LBB20_966
; %bb.962:
	v_add_u32_e32 v4, 0xffffff88, v8
	v_not_b32_e32 v6, 63
	v_cmp_lt_u32_e32 vcc, 63, v4
	v_cndmask_b32_e32 v6, 0, v6, vcc
	v_add_u32_e32 v4, v6, v4
	v_not_b32_e32 v6, 31
	v_cmp_lt_u32_e64 s[0:1], 31, v4
	v_cndmask_b32_e64 v7, 0, v6, s[0:1]
	v_add_u32_e32 v4, v7, v4
	v_cmp_lt_u32_e64 s[2:3], 31, v4
	v_cndmask_b32_e64 v6, 0, v6, s[2:3]
	v_add_u32_e32 v11, v6, v4
	v_and_b32_e32 v4, 0x7fffff, v3
	v_or_b32_e32 v22, 0x800000, v4
	s_mov_b32 s4, 0xfe5163ab
	v_mad_u64_u32 v[6:7], s[4:5], v22, s4, 0
	v_mov_b32_e32 v5, 0
	v_mov_b32_e32 v4, v7
	s_mov_b32 s4, 0x3c439041
	v_mad_u64_u32 v[12:13], s[4:5], v22, s4, v[4:5]
	v_mov_b32_e32 v4, v13
	s_mov_b32 s4, 0xdb629599
	v_mad_u64_u32 v[14:15], s[4:5], v22, s4, v[4:5]
	;; [unrolled: 3-line block ×6, first 2 shown]
	v_cndmask_b32_e32 v7, v20, v16, vcc
	v_cndmask_b32_e32 v4, v4, v18, vcc
	;; [unrolled: 1-line block ×3, first 2 shown]
	v_cndmask_b32_e64 v13, v4, v7, s[0:1]
	v_cndmask_b32_e64 v4, v5, v4, s[0:1]
	v_cndmask_b32_e32 v5, v18, v14, vcc
	v_cndmask_b32_e64 v7, v7, v5, s[0:1]
	v_sub_u32_e32 v15, 32, v11
	v_cmp_eq_u32_e64 s[4:5], 0, v11
	v_cndmask_b32_e32 v11, v16, v12, vcc
	v_cndmask_b32_e64 v4, v4, v13, s[2:3]
	v_cndmask_b32_e64 v13, v13, v7, s[2:3]
	;; [unrolled: 1-line block ×3, first 2 shown]
	v_alignbit_b32 v17, v4, v13, v15
	v_cndmask_b32_e64 v7, v7, v5, s[2:3]
	v_cndmask_b32_e64 v4, v17, v4, s[4:5]
	v_alignbit_b32 v12, v13, v7, v15
	v_cndmask_b32_e64 v12, v12, v13, s[4:5]
	v_bfe_u32 v17, v4, 29, 1
	v_cndmask_b32_e32 v6, v14, v6, vcc
	v_alignbit_b32 v13, v4, v12, 30
	v_sub_u32_e32 v18, 0, v17
	v_cndmask_b32_e64 v6, v11, v6, s[0:1]
	v_xor_b32_e32 v19, v13, v18
	v_cndmask_b32_e64 v5, v5, v6, s[2:3]
	v_alignbit_b32 v6, v7, v5, v15
	v_ffbh_u32_e32 v11, v19
	v_cndmask_b32_e64 v6, v6, v7, s[4:5]
	v_add_u32_e32 v11, 1, v11
	v_cmp_ne_u32_e32 vcc, v13, v18
	v_alignbit_b32 v7, v12, v6, 30
	v_cndmask_b32_e32 v11, 33, v11, vcc
	v_alignbit_b32 v5, v6, v5, 30
	v_xor_b32_e32 v7, v7, v18
	v_sub_u32_e32 v12, 32, v11
	v_xor_b32_e32 v5, v5, v18
	v_alignbit_b32 v13, v19, v7, v12
	v_alignbit_b32 v5, v7, v5, v12
	;; [unrolled: 1-line block ×3, first 2 shown]
	v_ffbh_u32_e32 v7, v6
	v_min_u32_e32 v7, 32, v7
	v_lshrrev_b32_e32 v16, 29, v4
	v_sub_u32_e32 v12, 31, v7
	v_alignbit_b32 v5, v6, v5, v12
	v_lshlrev_b32_e32 v6, 31, v16
	v_or_b32_e32 v12, 0x33800000, v6
	v_add_lshl_u32 v7, v7, v11, 23
	v_lshrrev_b32_e32 v5, 9, v5
	v_sub_u32_e32 v7, v12, v7
	v_or_b32_e32 v5, v7, v5
	v_alignbit_b32 v7, v11, v13, 9
	v_or_b32_e32 v6, v7, v6
	v_xor_b32_e32 v6, 1.0, v6
	s_mov_b32 s0, 0x3fc90fda
	v_mul_f32_e32 v7, 0x3fc90fda, v6
	v_fma_f32 v11, v6, s0, -v7
	v_fmac_f32_e32 v11, 0x33a22168, v6
	v_fmac_f32_e32 v11, 0x3fc90fda, v5
	v_lshrrev_b32_e32 v4, 30, v4
	v_add_f32_e32 v5, v7, v11
	v_add_u32_e32 v4, v17, v4
	s_andn2_saveexec_b64 s[0:1], s[26:27]
	s_branch .LBB20_967
.LBB20_963:
	s_or_b64 exec, exec, s[18:19]
	s_and_saveexec_b64 s[0:1], s[16:17]
	s_cbranch_execnz .LBB20_1050
.LBB20_964:
	s_or_b64 exec, exec, s[0:1]
	s_and_saveexec_b64 s[0:1], s[4:5]
	s_xor_b64 s[0:1], exec, s[0:1]
	s_cbranch_execz .LBB20_1051
.LBB20_965:
	v_cmp_neq_f32_e32 vcc, 0, v0
	v_cndmask_b32_e64 v1, 0, 1, vcc
	s_waitcnt vmcnt(0)
	global_store_byte v[2:3], v1, off
	s_or_b64 exec, exec, s[0:1]
	s_and_saveexec_b64 s[0:1], s[2:3]
	s_xor_b64 s[0:1], exec, s[0:1]
	s_cbranch_execz .LBB20_1089
	s_branch .LBB20_1052
.LBB20_966:
	s_andn2_saveexec_b64 s[0:1], s[26:27]
.LBB20_967:
	s_mov_b32 s2, 0x3f22f983
	v_mul_f32_e64 v4, |v0|, s2
	v_rndne_f32_e32 v6, v4
	s_mov_b32 s2, 0xbfc90fda
	v_cvt_i32_f32_e32 v4, v6
	v_fma_f32 v5, v6, s2, |v0|
	v_fmac_f32_e32 v5, 0xb3a22168, v6
	v_fmac_f32_e32 v5, 0xa7c234c4, v6
; %bb.968:
	s_or_b64 exec, exec, s[0:1]
                                        ; implicit-def: $vgpr6
                                        ; implicit-def: $vgpr7
	s_and_saveexec_b64 s[0:1], s[24:25]
	s_xor_b64 s[24:25], exec, s[0:1]
	s_cbranch_execz .LBB20_970
; %bb.969:
	v_add_u32_e32 v6, 0xffffff88, v8
	v_not_b32_e32 v8, 63
	v_cmp_lt_u32_e32 vcc, 63, v6
	v_cndmask_b32_e32 v8, 0, v8, vcc
	v_add_u32_e32 v6, v8, v6
	v_not_b32_e32 v8, 31
	v_cmp_lt_u32_e64 s[0:1], 31, v6
	v_cndmask_b32_e64 v11, 0, v8, s[0:1]
	v_add_u32_e32 v6, v11, v6
	v_cmp_lt_u32_e64 s[2:3], 31, v6
	v_cndmask_b32_e64 v8, 0, v8, s[2:3]
	v_add_u32_e32 v8, v8, v6
	v_and_b32_e32 v6, 0x7fffff, v3
	v_or_b32_e32 v11, 0x800000, v6
	s_mov_b32 s4, 0xfe5163ab
	v_mad_u64_u32 v[12:13], s[4:5], v11, s4, 0
	v_mov_b32_e32 v7, 0
	v_mov_b32_e32 v6, v13
	s_mov_b32 s4, 0x3c439041
	v_mad_u64_u32 v[14:15], s[4:5], v11, s4, v[6:7]
	v_mov_b32_e32 v6, v15
	s_mov_b32 s4, 0xdb629599
	v_mad_u64_u32 v[16:17], s[4:5], v11, s4, v[6:7]
	v_mov_b32_e32 v6, v17
	s_mov_b32 s4, 0xf534ddc0
	v_mad_u64_u32 v[18:19], s[4:5], v11, s4, v[6:7]
	v_mov_b32_e32 v6, v19
	s_mov_b32 s4, 0xfc2757d1
	v_mad_u64_u32 v[20:21], s[4:5], v11, s4, v[6:7]
	v_mov_b32_e32 v6, v21
	s_mov_b32 s4, 0x4e441529
	v_mad_u64_u32 v[22:23], s[4:5], v11, s4, v[6:7]
	v_mov_b32_e32 v6, v23
	s_mov_b32 s4, 0xa2f9836e
	v_mad_u64_u32 v[6:7], s[4:5], v11, s4, v[6:7]
	v_cndmask_b32_e32 v13, v22, v18, vcc
	v_cndmask_b32_e32 v6, v6, v20, vcc
	;; [unrolled: 1-line block ×3, first 2 shown]
	v_cndmask_b32_e64 v11, v6, v13, s[0:1]
	v_cndmask_b32_e64 v6, v7, v6, s[0:1]
	v_cndmask_b32_e32 v7, v20, v16, vcc
	v_cndmask_b32_e64 v13, v13, v7, s[0:1]
	v_sub_u32_e32 v15, 32, v8
	v_cmp_eq_u32_e64 s[4:5], 0, v8
	v_cndmask_b32_e32 v8, v18, v14, vcc
	v_cndmask_b32_e64 v6, v6, v11, s[2:3]
	v_cndmask_b32_e64 v11, v11, v13, s[2:3]
	;; [unrolled: 1-line block ×3, first 2 shown]
	v_alignbit_b32 v17, v6, v11, v15
	v_cndmask_b32_e64 v13, v13, v7, s[2:3]
	v_cndmask_b32_e64 v6, v17, v6, s[4:5]
	v_alignbit_b32 v14, v11, v13, v15
	v_cndmask_b32_e64 v11, v14, v11, s[4:5]
	v_bfe_u32 v18, v6, 29, 1
	v_cndmask_b32_e32 v12, v16, v12, vcc
	v_alignbit_b32 v14, v6, v11, 30
	v_sub_u32_e32 v19, 0, v18
	v_cndmask_b32_e64 v8, v8, v12, s[0:1]
	v_xor_b32_e32 v20, v14, v19
	v_cndmask_b32_e64 v7, v7, v8, s[2:3]
	v_alignbit_b32 v8, v13, v7, v15
	v_ffbh_u32_e32 v12, v20
	v_cndmask_b32_e64 v8, v8, v13, s[4:5]
	v_add_u32_e32 v12, 1, v12
	v_cmp_ne_u32_e32 vcc, v14, v19
	v_alignbit_b32 v11, v11, v8, 30
	v_cndmask_b32_e32 v12, 33, v12, vcc
	v_alignbit_b32 v7, v8, v7, 30
	v_xor_b32_e32 v11, v11, v19
	v_sub_u32_e32 v13, 32, v12
	v_xor_b32_e32 v7, v7, v19
	v_alignbit_b32 v14, v20, v11, v13
	v_alignbit_b32 v7, v11, v7, v13
	;; [unrolled: 1-line block ×3, first 2 shown]
	v_ffbh_u32_e32 v11, v8
	v_min_u32_e32 v11, 32, v11
	v_lshrrev_b32_e32 v17, 29, v6
	v_sub_u32_e32 v13, 31, v11
	v_alignbit_b32 v7, v8, v7, v13
	v_lshlrev_b32_e32 v8, 31, v17
	v_or_b32_e32 v13, 0x33800000, v8
	v_add_lshl_u32 v11, v11, v12, 23
	v_lshrrev_b32_e32 v7, 9, v7
	v_sub_u32_e32 v11, v13, v11
	v_or_b32_e32 v7, v11, v7
	v_alignbit_b32 v11, v12, v14, 9
	v_or_b32_e32 v8, v11, v8
	v_xor_b32_e32 v8, 1.0, v8
	s_mov_b32 s0, 0x3fc90fda
	v_mul_f32_e32 v11, 0x3fc90fda, v8
	v_fma_f32 v12, v8, s0, -v11
	v_fmac_f32_e32 v12, 0x33a22168, v8
	v_fmac_f32_e32 v12, 0x3fc90fda, v7
	v_lshrrev_b32_e32 v6, 30, v6
	v_add_f32_e32 v7, v11, v12
	v_add_u32_e32 v6, v18, v6
	s_andn2_saveexec_b64 s[0:1], s[24:25]
	s_cbranch_execnz .LBB20_971
	s_branch .LBB20_972
.LBB20_970:
	s_andn2_saveexec_b64 s[0:1], s[24:25]
.LBB20_971:
	s_mov_b32 s2, 0x3f22f983
	v_mul_f32_e64 v6, |v0|, s2
	v_rndne_f32_e32 v8, v6
	s_mov_b32 s2, 0xbfc90fda
	v_cvt_i32_f32_e32 v6, v8
	v_fma_f32 v7, v8, s2, |v0|
	v_fmac_f32_e32 v7, 0xb3a22168, v8
	v_fmac_f32_e32 v7, 0xa7c234c4, v8
.LBB20_972:
	s_or_b64 exec, exec, s[0:1]
	s_mov_b32 s2, 0x41c80000
	v_div_scale_f32 v8, s[0:1], v2, v2, s2
	v_rcp_f32_e32 v11, v8
	v_div_scale_f32 v12, vcc, s2, v2, s2
	v_mov_b32_e32 v18, 0xbf000004
	v_fma_f32 v13, -v8, v11, 1.0
	v_fmac_f32_e32 v11, v13, v11
	v_mul_f32_e32 v13, v12, v11
	v_fma_f32 v14, -v8, v13, v12
	v_fmac_f32_e32 v13, v14, v11
	v_fma_f32 v8, -v8, v13, v12
	v_div_fmas_f32 v8, v8, v11, v13
	v_div_fixup_f32 v2, v8, v2, s2
	v_mov_b32_e32 v8, 0x3a50e985
	v_fmac_f32_e32 v8, 0, v2
	v_mov_b32_e32 v11, 0x3da9a586
	v_fmac_f32_e32 v11, v2, v8
	;; [unrolled: 2-line block ×12, first 2 shown]
	v_fma_f32 v8, v2, v12, 1.0
	v_mov_b32_e32 v12, 0xbc3a3a12
	v_fmac_f32_e32 v12, 0, v2
	v_mov_b32_e32 v13, 0xbfa429da
	v_fmac_f32_e32 v13, v2, v12
	;; [unrolled: 2-line block ×9, first 2 shown]
	v_mov_b32_e32 v14, 0x44561b86
	v_fma_f32 v11, v2, v11, 1.0
	v_fmac_f32_e32 v14, v2, v12
	v_mov_b32_e32 v12, 0x4572a66e
	v_div_scale_f32 v15, s[0:1], v8, v8, v11
	v_fmac_f32_e32 v12, v2, v14
	v_mov_b32_e32 v14, 0x45e243be
	v_rcp_f32_e32 v16, v15
	v_fmac_f32_e32 v14, v2, v12
	v_mov_b32_e32 v12, 0x45b955d1
	v_fmac_f32_e32 v12, v2, v14
	v_mov_b32_e32 v14, 0x4500e17e
	;; [unrolled: 2-line block ×3, first 2 shown]
	v_fmac_f32_e32 v12, v2, v14
	v_fma_f32 v2, -v15, v16, 1.0
	v_fmac_f32_e32 v16, v2, v16
	v_div_scale_f32 v2, vcc, v11, v8, v11
	v_mul_f32_e32 v14, v2, v16
	v_fma_f32 v17, -v15, v14, v2
	v_fmac_f32_e32 v14, v17, v16
	v_fma_f32 v2, -v15, v14, v2
	v_div_fmas_f32 v2, v2, v16, v14
	v_div_fixup_f32 v2, v2, v8, v11
	v_mul_f32_e32 v8, v5, v5
	v_mov_b32_e32 v16, 0xbab64f3b
	v_mov_b32_e32 v14, 0x3c0881c4
	v_fmac_f32_e32 v16, 0x37d75334, v8
	v_mov_b32_e32 v17, 0x3d2aabf7
	v_fmac_f32_e32 v14, 0xb94c1982, v8
	v_mov_b32_e32 v15, 0xbe2aaa9d
	v_fma_f32 v16, v8, v16, v17
	v_fma_f32 v14, v8, v14, v15
	v_fma_f32 v16, v8, v16, v18
	v_mul_f32_e32 v14, v8, v14
	v_fma_f32 v8, v8, v16, 1.0
	v_and_b32_e32 v16, 1, v4
	v_fmac_f32_e32 v5, v5, v14
	v_cmp_eq_u32_e32 vcc, 0, v16
	v_lshlrev_b32_e32 v4, 30, v4
	v_cndmask_b32_e64 v5, -v5, v8, vcc
	v_and_b32_e32 v4, 0x80000000, v4
	s_mov_b32 s4, 0xc0a00000
	v_xor_b32_e32 v4, v4, v5
	v_div_scale_f32 v5, s[0:1], v1, v1, s4
	v_rcp_f32_e32 v8, v5
	s_movk_i32 s2, 0x1f8
	v_cmp_class_f32_e64 s[0:1], v0, s2
	v_mov_b32_e32 v11, 0x3c0881c4
	v_fma_f32 v19, -v5, v8, 1.0
	v_fmac_f32_e32 v8, v19, v8
	v_div_scale_f32 v19, vcc, s4, v1, s4
	v_mul_f32_e32 v20, v19, v8
	v_fma_f32 v21, -v5, v20, v19
	v_fmac_f32_e32 v20, v21, v8
	v_fma_f32 v5, -v5, v20, v19
	v_div_scale_f32 v19, s[2:3], v12, v12, v13
	v_rcp_f32_e32 v21, v19
	v_div_fmas_f32 v5, v5, v8, v20
	v_div_fixup_f32 v5, v5, v1, s4
	v_mov_b32_e32 v14, 0xbab64f3b
	v_fma_f32 v8, -v19, v21, 1.0
	v_fmac_f32_e32 v21, v8, v21
	v_div_scale_f32 v8, vcc, v13, v12, v13
	v_mul_f32_e32 v20, v8, v21
	v_fma_f32 v22, -v19, v20, v8
	v_fmac_f32_e32 v20, v22, v21
	v_fma_f32 v8, -v19, v20, v8
	v_div_fmas_f32 v8, v8, v21, v20
	v_div_fixup_f32 v8, v8, v12, v13
	v_mul_f32_e32 v5, v5, v8
	v_mul_f32_e32 v8, v7, v7
	v_fmac_f32_e32 v11, 0xb94c1982, v8
	v_fmac_f32_e32 v15, v8, v11
	;; [unrolled: 1-line block ×3, first 2 shown]
	v_mul_f32_e32 v11, v8, v15
	v_fmac_f32_e32 v17, v8, v14
	v_fmac_f32_e32 v7, v7, v11
	;; [unrolled: 1-line block ×3, first 2 shown]
	v_and_b32_e32 v11, 1, v6
	v_lshlrev_b32_e32 v6, 30, v6
	v_fma_f32 v8, v8, v18, 1.0
	v_cmp_eq_u32_e32 vcc, 0, v11
	v_and_b32_e32 v6, 0x80000000, v6
	v_xor_b32_e32 v0, v3, v0
	v_cndmask_b32_e32 v7, v8, v7, vcc
	v_xor_b32_e32 v0, v0, v6
	v_mov_b32_e32 v16, 0x7fc00000
	v_xor_b32_e32 v0, v0, v7
	v_cndmask_b32_e64 v4, v16, v4, s[0:1]
	v_cndmask_b32_e64 v0, v16, v0, s[0:1]
	s_mov_b32 s0, 0xf800000
	v_mul_f32_e32 v3, 0x4f800000, v1
	v_cmp_gt_f32_e32 vcc, s0, v1
	v_cndmask_b32_e32 v1, v1, v3, vcc
	v_sqrt_f32_e32 v3, v1
	v_mul_f32_e32 v0, v5, v0
	v_fmac_f32_e32 v0, v2, v4
	v_mul_f32_e32 v0, 0x3f4c422a, v0
	v_add_u32_e32 v2, -1, v3
	v_fma_f32 v4, -v2, v3, v1
	v_cmp_ge_f32_e64 s[0:1], 0, v4
	v_add_u32_e32 v4, 1, v3
	v_cndmask_b32_e64 v2, v3, v2, s[0:1]
	v_fma_f32 v3, -v4, v3, v1
	v_cmp_lt_f32_e64 s[0:1], 0, v3
	v_cndmask_b32_e64 v2, v2, v4, s[0:1]
	v_mul_f32_e32 v3, 0x37800000, v2
	v_cndmask_b32_e32 v2, v2, v3, vcc
	v_mov_b32_e32 v3, 0x260
	v_cmp_class_f32_e32 vcc, v1, v3
	v_cndmask_b32_e32 v1, v2, v1, vcc
	v_div_scale_f32 v2, s[0:1], v1, v1, v0
	v_rcp_f32_e32 v3, v2
	v_fma_f32 v4, -v2, v3, 1.0
	v_fmac_f32_e32 v3, v4, v3
	v_div_scale_f32 v4, vcc, v0, v1, v0
	v_mul_f32_e32 v5, v4, v3
	v_fma_f32 v6, -v2, v5, v4
	v_fmac_f32_e32 v5, v6, v3
	v_fma_f32 v2, -v2, v5, v4
	v_div_fmas_f32 v2, v2, v3, v5
	v_div_fixup_f32 v0, v2, v1, v0
.LBB20_973:
	s_or_b64 exec, exec, s[22:23]
	v_mul_lo_u32 v1, v9, s12
	v_ashrrev_i32_e32 v3, 31, v1
	v_mov_b32_e32 v4, s9
	v_add_co_u32_e32 v2, vcc, s8, v1
	v_addc_co_u32_e32 v3, vcc, v4, v3, vcc
	v_and_b32_e32 v4, 0xff, v10
	v_cmp_gt_i16_e32 vcc, 11, v4
	s_cbranch_vccnz .LBB20_990
; %bb.974:
	v_cmp_lt_i16_e32 vcc, 25, v4
	s_mov_b64 s[4:5], -1
	s_mov_b64 s[0:1], s[16:17]
	s_cbranch_vccz .LBB20_1008
; %bb.975:
	v_cmp_lt_i16_e32 vcc, 28, v4
	s_mov_b64 s[2:3], -1
	s_mov_b64 s[0:1], s[16:17]
	s_cbranch_vccz .LBB20_992
; %bb.976:
	v_cmp_lt_i16_e32 vcc, 43, v4
	s_mov_b64 s[0:1], s[16:17]
	s_cbranch_vccz .LBB20_987
; %bb.977:
	v_cmp_lt_i16_e32 vcc, 45, v4
	s_mov_b64 s[0:1], s[16:17]
	s_cbranch_vccz .LBB20_981
; %bb.978:
	v_cmp_eq_u16_e32 vcc, 46, v4
	s_mov_b64 s[0:1], -1
	s_cbranch_vccz .LBB20_980
; %bb.979:
	v_bfe_u32 v1, v0, 16, 1
	s_movk_i32 s0, 0x7fff
	v_add3_u32 v1, v0, v1, s0
	v_lshrrev_b32_e32 v1, 16, v1
	v_mov_b32_e32 v5, 0x7fc0
	v_cmp_o_f32_e32 vcc, v0, v0
	v_cndmask_b32_e32 v1, v5, v1, vcc
	global_store_dword v[2:3], v1, off
	s_mov_b64 s[0:1], 0
.LBB20_980:
	s_mov_b64 s[2:3], 0
.LBB20_981:
	s_and_b64 vcc, exec, s[2:3]
	s_cbranch_vccz .LBB20_986
; %bb.982:
	v_cmp_eq_u16_e32 vcc, 44, v4
	s_mov_b64 s[0:1], -1
	s_cbranch_vccz .LBB20_986
; %bb.983:
	v_bfe_u32 v1, v0, 23, 8
	s_movk_i32 s0, 0xff
	v_cmp_ne_u32_e32 vcc, s0, v1
	v_mov_b32_e32 v5, 0xff
	s_and_saveexec_b64 s[2:3], vcc
; %bb.984:
	s_mov_b32 s0, 0x3fffff
	v_and_b32_e32 v6, 0x400000, v0
	v_and_or_b32 v1, v0, s0, v1
	v_cmp_ne_u32_e32 vcc, 0, v6
	v_cmp_ne_u32_e64 s[0:1], 0, v1
	s_and_b64 s[0:1], vcc, s[0:1]
	v_lshrrev_b32_e32 v5, 23, v0
	v_cndmask_b32_e64 v1, 0, 1, s[0:1]
	v_add_u32_e32 v5, v5, v1
; %bb.985:
	s_or_b64 exec, exec, s[2:3]
	s_mov_b64 s[0:1], 0
	global_store_byte v[2:3], v5, off
.LBB20_986:
	s_mov_b64 s[2:3], 0
.LBB20_987:
	s_and_b64 vcc, exec, s[2:3]
	s_cbranch_vccz .LBB20_991
; %bb.988:
	v_cmp_eq_u16_e32 vcc, 29, v4
	s_mov_b64 s[0:1], -1
	s_cbranch_vccz .LBB20_991
; %bb.989:
	v_trunc_f32_e32 v1, v0
	v_mul_f32_e32 v5, 0x2f800000, v1
	v_floor_f32_e32 v5, v5
	v_fmac_f32_e32 v1, 0xcf800000, v5
	v_cvt_u32_f32_e32 v7, v5
	v_cvt_u32_f32_e32 v6, v1
	s_mov_b64 s[0:1], 0
	s_mov_b64 s[2:3], 0
	global_store_dwordx2 v[2:3], v[6:7], off
	s_branch .LBB20_992
.LBB20_990:
	s_mov_b64 s[4:5], 0
	s_mov_b64 s[2:3], -1
	s_mov_b64 s[0:1], s[16:17]
	s_branch .LBB20_1049
.LBB20_991:
	s_mov_b64 s[2:3], 0
.LBB20_992:
	s_and_b64 vcc, exec, s[2:3]
	s_cbranch_vccz .LBB20_1007
; %bb.993:
	v_cmp_gt_i16_e32 vcc, 27, v4
	s_mov_b64 s[2:3], -1
	s_cbranch_vccnz .LBB20_999
; %bb.994:
	v_cvt_u32_f32_e32 v1, v0
	v_cmp_lt_i16_e32 vcc, 27, v4
	s_cbranch_vccz .LBB20_996
; %bb.995:
	s_mov_b64 s[2:3], 0
	global_store_dword v[2:3], v1, off
.LBB20_996:
	s_andn2_b64 vcc, exec, s[2:3]
	s_cbranch_vccnz .LBB20_998
; %bb.997:
	global_store_short v[2:3], v1, off
.LBB20_998:
	s_mov_b64 s[2:3], 0
.LBB20_999:
	s_andn2_b64 vcc, exec, s[2:3]
	s_cbranch_vccnz .LBB20_1007
; %bb.1000:
	v_and_b32_e32 v1, 0x7fffffff, v0
	s_mov_b32 s2, 0x43800000
	v_cmp_gt_u32_e32 vcc, s2, v1
	v_mov_b32_e32 v5, 0x80
	s_and_saveexec_b64 s[2:3], vcc
	s_cbranch_execz .LBB20_1006
; %bb.1001:
	s_mov_b32 s4, 0x3bffffff
	v_cmp_lt_u32_e32 vcc, s4, v1
	s_mov_b64 s[4:5], 0
                                        ; implicit-def: $vgpr1
	s_and_saveexec_b64 s[22:23], vcc
	s_xor_b64 s[22:23], exec, s[22:23]
	s_cbranch_execz .LBB20_1104
; %bb.1002:
	v_bfe_u32 v1, v0, 20, 1
	s_mov_b32 s24, 0x487ffff
	v_add3_u32 v1, v0, v1, s24
	s_mov_b64 s[4:5], exec
	v_lshrrev_b32_e32 v1, 20, v1
	s_or_saveexec_b64 s[22:23], s[22:23]
                                        ; implicit-def: $sgpr24
	s_xor_b64 exec, exec, s[22:23]
	s_cbranch_execnz .LBB20_1105
.LBB20_1003:
	s_or_b64 exec, exec, s[22:23]
	v_mov_b32_e32 v5, s24
	s_and_saveexec_b64 s[22:23], s[4:5]
.LBB20_1004:
	v_lshrrev_b32_e32 v5, 24, v0
	s_movk_i32 s4, 0x80
	v_and_or_b32 v5, v5, s4, v1
.LBB20_1005:
	s_or_b64 exec, exec, s[22:23]
.LBB20_1006:
	s_or_b64 exec, exec, s[2:3]
	global_store_byte v[2:3], v5, off
.LBB20_1007:
	s_mov_b64 s[4:5], 0
.LBB20_1008:
	s_mov_b64 s[2:3], 0
	s_and_b64 vcc, exec, s[4:5]
	s_cbranch_vccz .LBB20_1048
; %bb.1009:
	v_cmp_lt_i16_e32 vcc, 22, v4
	s_mov_b64 s[4:5], -1
	s_cbranch_vccz .LBB20_1041
; %bb.1010:
	v_cmp_gt_i16_e32 vcc, 24, v4
	s_cbranch_vccnz .LBB20_1030
; %bb.1011:
	v_cmp_lt_i16_e32 vcc, 24, v4
	s_cbranch_vccz .LBB20_1019
; %bb.1012:
	v_and_b32_e32 v1, 0x7fffffff, v0
	s_mov_b32 s4, 0x47800000
	v_cmp_gt_u32_e32 vcc, s4, v1
	v_mov_b32_e32 v5, 0x80
	s_and_saveexec_b64 s[4:5], vcc
	s_cbranch_execz .LBB20_1018
; %bb.1013:
	s_mov_b32 s22, 0x37ffffff
	v_cmp_lt_u32_e32 vcc, s22, v1
	s_mov_b64 s[22:23], 0
                                        ; implicit-def: $vgpr1
	s_and_saveexec_b64 s[24:25], vcc
	s_xor_b64 s[24:25], exec, s[24:25]
	s_cbranch_execz .LBB20_1245
; %bb.1014:
	v_bfe_u32 v1, v0, 21, 1
	s_mov_b32 s26, 0x88fffff
	v_add3_u32 v1, v0, v1, s26
	s_mov_b64 s[22:23], exec
	v_lshrrev_b32_e32 v1, 21, v1
	s_or_saveexec_b64 s[24:25], s[24:25]
                                        ; implicit-def: $sgpr26
	s_xor_b64 exec, exec, s[24:25]
	s_cbranch_execnz .LBB20_1246
.LBB20_1015:
	s_or_b64 exec, exec, s[24:25]
	v_mov_b32_e32 v5, s26
	s_and_saveexec_b64 s[24:25], s[22:23]
.LBB20_1016:
	v_lshrrev_b32_e32 v5, 24, v0
	s_movk_i32 s22, 0x80
	v_and_or_b32 v5, v5, s22, v1
.LBB20_1017:
	s_or_b64 exec, exec, s[24:25]
.LBB20_1018:
	s_or_b64 exec, exec, s[4:5]
	s_mov_b64 s[4:5], 0
	global_store_byte v[2:3], v5, off
.LBB20_1019:
	s_and_b64 vcc, exec, s[4:5]
	s_cbranch_vccz .LBB20_1029
; %bb.1020:
	v_and_b32_e32 v5, 0x7fffffff, v0
	s_mov_b32 s4, 0x43f00000
	v_cmp_gt_u32_e32 vcc, s4, v5
                                        ; implicit-def: $vgpr1
	s_and_saveexec_b64 s[4:5], vcc
	s_xor_b64 s[4:5], exec, s[4:5]
	s_cbranch_execz .LBB20_1026
; %bb.1021:
	s_mov_b32 s22, 0x3c7fffff
	v_cmp_lt_u32_e32 vcc, s22, v5
                                        ; implicit-def: $vgpr1
	s_and_saveexec_b64 s[22:23], vcc
	s_xor_b64 s[22:23], exec, s[22:23]
; %bb.1022:
	v_bfe_u32 v1, v0, 20, 1
	s_mov_b32 s24, 0x407ffff
	v_add3_u32 v1, v0, v1, s24
	v_lshrrev_b32_e32 v5, 20, v1
	v_and_b32_e32 v1, 0xff00000, v1
	s_mov_b32 s24, 0x7f00000
	v_mov_b32_e32 v6, 0x7e
	v_cmp_ne_u32_e32 vcc, s24, v1
	v_cndmask_b32_e32 v1, v6, v5, vcc
; %bb.1023:
	s_andn2_saveexec_b64 s[22:23], s[22:23]
; %bb.1024:
	s_mov_b32 s24, 0x46800000
	v_add_f32_e64 v1, |v0|, s24
; %bb.1025:
	s_or_b64 exec, exec, s[22:23]
                                        ; implicit-def: $vgpr5
.LBB20_1026:
	s_andn2_saveexec_b64 s[4:5], s[4:5]
; %bb.1027:
	s_mov_b32 s22, 0x7f800000
	v_mov_b32_e32 v1, 0x7e
	v_mov_b32_e32 v6, 0x7f
	v_cmp_lt_u32_e32 vcc, s22, v5
	v_cndmask_b32_e32 v1, v1, v6, vcc
; %bb.1028:
	s_or_b64 exec, exec, s[4:5]
	v_lshrrev_b32_e32 v5, 24, v0
	s_movk_i32 s4, 0x80
	v_and_or_b32 v1, v5, s4, v1
	global_store_byte v[2:3], v1, off
.LBB20_1029:
	s_mov_b64 s[4:5], 0
.LBB20_1030:
	s_andn2_b64 vcc, exec, s[4:5]
	s_cbranch_vccnz .LBB20_1040
; %bb.1031:
	v_and_b32_e32 v5, 0x7fffffff, v0
	s_mov_b32 s4, 0x47800000
	v_cmp_gt_u32_e32 vcc, s4, v5
                                        ; implicit-def: $vgpr1
	s_and_saveexec_b64 s[4:5], vcc
	s_xor_b64 s[4:5], exec, s[4:5]
	s_cbranch_execz .LBB20_1037
; %bb.1032:
	s_mov_b32 s22, 0x387fffff
	v_cmp_lt_u32_e32 vcc, s22, v5
                                        ; implicit-def: $vgpr1
	s_and_saveexec_b64 s[22:23], vcc
	s_xor_b64 s[22:23], exec, s[22:23]
; %bb.1033:
	v_bfe_u32 v1, v0, 21, 1
	s_mov_b32 s24, 0x80fffff
	v_add3_u32 v1, v0, v1, s24
	v_lshrrev_b32_e32 v1, 21, v1
; %bb.1034:
	s_andn2_saveexec_b64 s[22:23], s[22:23]
; %bb.1035:
	s_mov_b32 s24, 0x43000000
	v_add_f32_e64 v1, |v0|, s24
; %bb.1036:
	s_or_b64 exec, exec, s[22:23]
                                        ; implicit-def: $vgpr5
.LBB20_1037:
	s_andn2_saveexec_b64 s[4:5], s[4:5]
; %bb.1038:
	s_mov_b32 s22, 0x7f800000
	v_mov_b32_e32 v1, 0x7c
	v_mov_b32_e32 v6, 0x7f
	v_cmp_lt_u32_e32 vcc, s22, v5
	v_cndmask_b32_e32 v1, v1, v6, vcc
; %bb.1039:
	s_or_b64 exec, exec, s[4:5]
	v_lshrrev_b32_e32 v5, 24, v0
	s_movk_i32 s4, 0x80
	v_and_or_b32 v1, v5, s4, v1
	global_store_byte v[2:3], v1, off
.LBB20_1040:
	s_mov_b64 s[4:5], 0
.LBB20_1041:
	s_andn2_b64 vcc, exec, s[4:5]
	s_mov_b64 s[4:5], 0
	s_cbranch_vccnz .LBB20_1049
; %bb.1042:
	v_cmp_lt_i16_e32 vcc, 14, v4
	s_mov_b64 s[22:23], -1
	s_cbranch_vccz .LBB20_1046
; %bb.1043:
	v_cmp_eq_u16_e32 vcc, 15, v4
	s_mov_b64 s[0:1], -1
	s_cbranch_vccz .LBB20_1045
; %bb.1044:
	v_bfe_u32 v1, v0, 16, 1
	s_movk_i32 s0, 0x7fff
	v_add3_u32 v1, v0, v1, s0
	v_lshrrev_b32_e32 v1, 16, v1
	v_mov_b32_e32 v5, 0x7fc0
	v_cmp_o_f32_e32 vcc, v0, v0
	v_cndmask_b32_e32 v1, v5, v1, vcc
	global_store_short v[2:3], v1, off
	s_mov_b64 s[0:1], 0
.LBB20_1045:
	s_mov_b64 s[22:23], 0
.LBB20_1046:
	s_and_b64 vcc, exec, s[22:23]
	s_cbranch_vccz .LBB20_1049
; %bb.1047:
	v_cmp_ne_u16_e32 vcc, 11, v4
	s_andn2_b64 s[0:1], s[0:1], exec
	s_and_b64 s[22:23], vcc, exec
	s_mov_b64 s[4:5], -1
	s_or_b64 s[0:1], s[0:1], s[22:23]
	s_branch .LBB20_1049
.LBB20_1048:
	s_mov_b64 s[4:5], 0
.LBB20_1049:
	s_andn2_b64 s[16:17], s[16:17], exec
	s_and_b64 s[0:1], s[0:1], exec
	s_and_b64 s[2:3], s[2:3], exec
	;; [unrolled: 1-line block ×3, first 2 shown]
	s_or_b64 s[16:17], s[16:17], s[0:1]
	s_or_b64 exec, exec, s[18:19]
	s_and_saveexec_b64 s[0:1], s[16:17]
	s_cbranch_execz .LBB20_964
.LBB20_1050:
	s_or_b64 s[20:21], s[20:21], exec
	s_andn2_b64 s[4:5], s[4:5], exec
	s_trap 2
	s_or_b64 exec, exec, s[0:1]
	s_and_saveexec_b64 s[0:1], s[4:5]
	s_xor_b64 s[0:1], exec, s[0:1]
	s_cbranch_execnz .LBB20_965
.LBB20_1051:
	s_or_b64 exec, exec, s[0:1]
	s_and_saveexec_b64 s[0:1], s[2:3]
	s_xor_b64 s[0:1], exec, s[0:1]
	s_cbranch_execz .LBB20_1089
.LBB20_1052:
	v_cmp_gt_i16_e32 vcc, 5, v4
	s_mov_b64 s[2:3], -1
	s_cbranch_vccnz .LBB20_1073
; %bb.1053:
	v_cmp_gt_i16_e32 vcc, 8, v4
	s_cbranch_vccnz .LBB20_1063
; %bb.1054:
	v_cmp_gt_i16_e32 vcc, 9, v4
	s_cbranch_vccnz .LBB20_1060
; %bb.1055:
	v_cmp_lt_i16_e32 vcc, 9, v4
	s_cbranch_vccz .LBB20_1057
; %bb.1056:
	v_mov_b32_e32 v8, 0
	v_cvt_f64_f32_e32 v[6:7], v0
	v_mov_b32_e32 v9, v8
	s_mov_b64 s[2:3], 0
	s_waitcnt vmcnt(0)
	global_store_dwordx4 v[2:3], v[6:9], off
.LBB20_1057:
	s_andn2_b64 vcc, exec, s[2:3]
	s_cbranch_vccnz .LBB20_1059
; %bb.1058:
	v_mov_b32_e32 v1, 0
	s_waitcnt vmcnt(0)
	global_store_dwordx2 v[2:3], v[0:1], off
.LBB20_1059:
	s_mov_b64 s[2:3], 0
.LBB20_1060:
	s_andn2_b64 vcc, exec, s[2:3]
	s_cbranch_vccnz .LBB20_1062
; %bb.1061:
	v_cvt_f16_f32_e32 v1, v0
	s_waitcnt vmcnt(0)
	global_store_dword v[2:3], v1, off
.LBB20_1062:
	s_mov_b64 s[2:3], 0
.LBB20_1063:
	s_andn2_b64 vcc, exec, s[2:3]
	s_cbranch_vccnz .LBB20_1072
; %bb.1064:
	v_cmp_gt_i16_e32 vcc, 6, v4
	s_mov_b64 s[2:3], -1
	s_cbranch_vccnz .LBB20_1070
; %bb.1065:
	v_cmp_lt_i16_e32 vcc, 6, v4
	s_cbranch_vccz .LBB20_1067
; %bb.1066:
	v_cvt_f64_f32_e32 v[6:7], v0
	s_mov_b64 s[2:3], 0
	s_waitcnt vmcnt(0)
	global_store_dwordx2 v[2:3], v[6:7], off
.LBB20_1067:
	s_andn2_b64 vcc, exec, s[2:3]
	s_cbranch_vccnz .LBB20_1069
; %bb.1068:
	s_waitcnt vmcnt(0)
	global_store_dword v[2:3], v0, off
.LBB20_1069:
	s_mov_b64 s[2:3], 0
.LBB20_1070:
	s_andn2_b64 vcc, exec, s[2:3]
	s_cbranch_vccnz .LBB20_1072
; %bb.1071:
	v_cvt_f16_f32_e32 v1, v0
	s_waitcnt vmcnt(0)
	global_store_short v[2:3], v1, off
.LBB20_1072:
	s_mov_b64 s[2:3], 0
.LBB20_1073:
	s_andn2_b64 vcc, exec, s[2:3]
	s_cbranch_vccnz .LBB20_1089
; %bb.1074:
	v_cmp_gt_i16_e32 vcc, 2, v4
	s_mov_b64 s[2:3], -1
	s_cbranch_vccnz .LBB20_1084
; %bb.1075:
	v_cmp_gt_i16_e32 vcc, 3, v4
	s_cbranch_vccnz .LBB20_1081
; %bb.1076:
	v_cmp_lt_i16_e32 vcc, 3, v4
	s_cbranch_vccz .LBB20_1078
; %bb.1077:
	v_trunc_f32_e32 v1, v0
	s_mov_b32 s2, 0x2f800000
	s_waitcnt vmcnt(0)
	v_mul_f32_e64 v5, |v1|, s2
	v_floor_f32_e32 v5, v5
	s_mov_b32 s2, 0xcf800000
	v_cvt_u32_f32_e32 v6, v5
	v_fma_f32 v5, v5, s2, |v1|
	v_cvt_u32_f32_e32 v5, v5
	v_ashrrev_i32_e32 v1, 31, v1
	v_xor_b32_e32 v7, v6, v1
	s_mov_b64 s[2:3], 0
	v_xor_b32_e32 v5, v5, v1
	v_sub_co_u32_e32 v6, vcc, v5, v1
	v_subb_co_u32_e32 v7, vcc, v7, v1, vcc
	global_store_dwordx2 v[2:3], v[6:7], off
.LBB20_1078:
	s_andn2_b64 vcc, exec, s[2:3]
	s_cbranch_vccnz .LBB20_1080
; %bb.1079:
	v_cvt_i32_f32_e32 v1, v0
	s_waitcnt vmcnt(0)
	global_store_dword v[2:3], v1, off
.LBB20_1080:
	s_mov_b64 s[2:3], 0
.LBB20_1081:
	s_andn2_b64 vcc, exec, s[2:3]
	s_cbranch_vccnz .LBB20_1083
; %bb.1082:
	v_cvt_i32_f32_e32 v1, v0
	s_waitcnt vmcnt(0)
	global_store_short v[2:3], v1, off
.LBB20_1083:
	s_mov_b64 s[2:3], 0
.LBB20_1084:
	s_andn2_b64 vcc, exec, s[2:3]
	s_cbranch_vccnz .LBB20_1089
; %bb.1085:
	v_cmp_lt_i16_e32 vcc, 0, v4
	s_mov_b64 s[2:3], -1
	s_cbranch_vccz .LBB20_1087
; %bb.1086:
	v_cvt_i32_f32_e32 v1, v0
	s_mov_b64 s[2:3], 0
	s_waitcnt vmcnt(0)
	global_store_byte v[2:3], v1, off
.LBB20_1087:
	s_andn2_b64 vcc, exec, s[2:3]
	s_cbranch_vccnz .LBB20_1089
; %bb.1088:
	v_trunc_f32_e32 v0, v0
	s_mov_b32 s2, 0x2f800000
	v_mul_f32_e64 v1, |v0|, s2
	v_floor_f32_e32 v1, v1
	s_mov_b32 s2, 0xcf800000
	v_fma_f32 v1, v1, s2, |v0|
	v_cvt_u32_f32_e32 v1, v1
	v_ashrrev_i32_e32 v0, 31, v0
	v_xor_b32_e32 v1, v1, v0
	v_sub_u32_e32 v0, v1, v0
	s_waitcnt vmcnt(0)
	global_store_byte v[2:3], v0, off
.LBB20_1089:
	s_or_b64 exec, exec, s[0:1]
	s_and_b64 s[16:17], s[20:21], exec
                                        ; implicit-def: $vgpr9
                                        ; implicit-def: $vgpr8
                                        ; implicit-def: $vgpr7
                                        ; implicit-def: $vgpr10
.LBB20_1090:
	s_or_saveexec_b64 s[18:19], s[6:7]
	s_mov_b64 s[0:1], 0
                                        ; implicit-def: $vgpr2
                                        ; implicit-def: $vgpr0_vgpr1
                                        ; implicit-def: $vgpr6
	s_xor_b64 exec, exec, s[18:19]
	s_cbranch_execz .LBB20_1663
; %bb.1091:
	v_mul_lo_u32 v0, s13, v9
	v_ashrrev_i32_e32 v1, 31, v0
	s_waitcnt vmcnt(0)
	v_mov_b32_e32 v2, s11
	v_add_co_u32_e32 v0, vcc, s10, v0
	v_addc_co_u32_e32 v1, vcc, v2, v1, vcc
	v_cmp_gt_i16_e64 s[0:1], 11, v8
	s_and_b64 vcc, exec, s[0:1]
	s_cbranch_vccnz .LBB20_1098
; %bb.1092:
	v_cmp_lt_i16_e32 vcc, 25, v8
	s_mov_b64 s[4:5], 0
	s_cbranch_vccz .LBB20_1100
; %bb.1093:
	v_cmp_lt_i16_e32 vcc, 28, v8
	s_cbranch_vccz .LBB20_1101
; %bb.1094:
	v_cmp_lt_i16_e32 vcc, 43, v8
	;; [unrolled: 3-line block ×3, first 2 shown]
	s_cbranch_vccz .LBB20_1103
; %bb.1096:
	v_cmp_eq_u16_e32 vcc, 46, v8
	s_cbranch_vccz .LBB20_1106
; %bb.1097:
	global_load_dword v2, v[0:1], off
	s_mov_b64 s[2:3], 0
	s_mov_b64 s[6:7], -1
	s_waitcnt vmcnt(0)
	v_lshlrev_b32_e32 v2, 16, v2
	s_branch .LBB20_1107
.LBB20_1098:
	s_mov_b64 s[6:7], 0
                                        ; implicit-def: $vgpr2
	s_mov_b64 s[20:21], s[16:17]
	s_cbranch_execnz .LBB20_1170
.LBB20_1099:
	s_andn2_b64 vcc, exec, s[6:7]
	s_cbranch_vccz .LBB20_1215
	s_branch .LBB20_1660
.LBB20_1100:
	s_mov_b64 s[6:7], 0
	s_mov_b64 s[2:3], 0
                                        ; implicit-def: $vgpr2
	s_cbranch_execnz .LBB20_1135
	s_branch .LBB20_1166
.LBB20_1101:
	s_mov_b64 s[14:15], -1
	s_mov_b64 s[6:7], 0
	s_mov_b64 s[2:3], 0
                                        ; implicit-def: $vgpr2
	s_branch .LBB20_1116
.LBB20_1102:
	s_mov_b64 s[6:7], 0
	s_mov_b64 s[2:3], 0
                                        ; implicit-def: $vgpr2
	s_cbranch_execnz .LBB20_1112
	s_branch .LBB20_1115
.LBB20_1103:
	s_mov_b64 s[14:15], -1
	s_mov_b64 s[6:7], 0
	s_mov_b64 s[2:3], 0
                                        ; implicit-def: $vgpr2
	s_branch .LBB20_1107
.LBB20_1104:
	s_or_saveexec_b64 s[22:23], s[22:23]
                                        ; implicit-def: $sgpr24
	s_xor_b64 exec, exec, s[22:23]
	s_cbranch_execz .LBB20_1003
.LBB20_1105:
	s_mov_b32 s24, 0x46000000
	v_add_f32_e64 v1, |v0|, s24
	v_and_b32_e32 v1, 0xff, v1
	v_cmp_ne_u32_e32 vcc, 0, v1
	s_andn2_b64 s[4:5], s[4:5], exec
	s_and_b64 s[26:27], vcc, exec
	s_mov_b32 s24, 0
	s_or_b64 s[4:5], s[4:5], s[26:27]
	s_or_b64 exec, exec, s[22:23]
	v_mov_b32_e32 v5, s24
	s_and_saveexec_b64 s[22:23], s[4:5]
	s_cbranch_execnz .LBB20_1004
	s_branch .LBB20_1005
.LBB20_1106:
	s_mov_b64 s[2:3], -1
                                        ; implicit-def: $vgpr2
	s_mov_b64 s[6:7], 0
.LBB20_1107:
	s_and_b64 vcc, exec, s[14:15]
	s_cbranch_vccz .LBB20_1110
; %bb.1108:
	v_cmp_eq_u16_e32 vcc, 44, v8
	s_cbranch_vccz .LBB20_1111
; %bb.1109:
	global_load_ubyte v2, v[0:1], off
	s_movk_i32 s6, 0xff
	v_mov_b32_e32 v3, 0x7f800001
	v_mov_b32_e32 v4, 0x400000
	s_mov_b64 s[2:3], 0
	s_waitcnt vmcnt(0)
	v_lshlrev_b32_e32 v5, 23, v2
	v_cmp_ne_u32_e32 vcc, s6, v2
	v_cndmask_b32_e32 v3, v3, v5, vcc
	v_cmp_ne_u32_e32 vcc, 0, v2
	v_cndmask_b32_e32 v2, v4, v3, vcc
	s_mov_b64 s[6:7], -1
.LBB20_1110:
	s_branch .LBB20_1115
.LBB20_1111:
	s_mov_b64 s[2:3], -1
                                        ; implicit-def: $vgpr2
	s_branch .LBB20_1115
.LBB20_1112:
	v_cmp_eq_u16_e32 vcc, 29, v8
	s_cbranch_vccz .LBB20_1114
; %bb.1113:
	global_load_dwordx2 v[2:3], v[0:1], off
	s_mov_b64 s[2:3], 0
	s_mov_b64 s[6:7], -1
	s_mov_b64 s[14:15], 0
	s_waitcnt vmcnt(0)
	v_ffbh_u32_e32 v4, v3
	v_min_u32_e32 v4, 32, v4
	v_lshlrev_b64 v[2:3], v4, v[2:3]
	v_min_u32_e32 v2, 1, v2
	v_or_b32_e32 v2, v3, v2
	v_cvt_f32_u32_e32 v2, v2
	v_sub_u32_e32 v3, 32, v4
	v_ldexp_f32 v2, v2, v3
	s_branch .LBB20_1116
.LBB20_1114:
	s_mov_b64 s[2:3], -1
                                        ; implicit-def: $vgpr2
.LBB20_1115:
	s_mov_b64 s[14:15], 0
.LBB20_1116:
	s_and_b64 vcc, exec, s[14:15]
	s_cbranch_vccz .LBB20_1134
; %bb.1117:
	v_cmp_gt_i16_e32 vcc, 27, v8
	s_cbranch_vccnz .LBB20_1120
; %bb.1118:
	v_cmp_lt_i16_e32 vcc, 27, v8
	s_cbranch_vccz .LBB20_1121
; %bb.1119:
	global_load_dword v2, v[0:1], off
	s_mov_b64 s[6:7], 0
	s_waitcnt vmcnt(0)
	v_cvt_f32_u32_e32 v2, v2
	s_branch .LBB20_1122
.LBB20_1120:
	s_mov_b64 s[6:7], -1
                                        ; implicit-def: $vgpr2
	s_branch .LBB20_1125
.LBB20_1121:
	s_mov_b64 s[6:7], -1
                                        ; implicit-def: $vgpr2
.LBB20_1122:
	s_andn2_b64 vcc, exec, s[6:7]
	s_cbranch_vccnz .LBB20_1124
; %bb.1123:
	global_load_ushort v2, v[0:1], off
	s_waitcnt vmcnt(0)
	v_cvt_f32_u32_e32 v2, v2
.LBB20_1124:
	s_mov_b64 s[6:7], 0
.LBB20_1125:
	s_andn2_b64 vcc, exec, s[6:7]
	s_cbranch_vccnz .LBB20_1133
; %bb.1126:
	global_load_ubyte v3, v[0:1], off
	s_movk_i32 s6, 0x7f
                                        ; implicit-def: $sgpr22
	s_waitcnt vmcnt(0)
	v_cmp_lt_i16_e32 vcc, s6, v3
	s_mov_b64 s[6:7], 0
	s_and_saveexec_b64 s[14:15], vcc
	s_xor_b64 s[14:15], exec, s[14:15]
	s_cbranch_execz .LBB20_1146
; %bb.1127:
	s_movk_i32 s6, 0x80
	v_cmp_eq_u16_e32 vcc, s6, v3
	s_mov_b64 s[6:7], -1
                                        ; implicit-def: $sgpr22
	s_and_saveexec_b64 s[20:21], vcc
; %bb.1128:
	s_mov_b32 s22, 0x7f800001
	s_xor_b64 s[6:7], exec, -1
; %bb.1129:
	s_or_b64 exec, exec, s[20:21]
	s_and_b64 s[6:7], s[6:7], exec
	s_or_saveexec_b64 s[14:15], s[14:15]
	v_mov_b32_e32 v2, s22
	s_xor_b64 exec, exec, s[14:15]
	s_cbranch_execnz .LBB20_1147
.LBB20_1130:
	s_or_b64 exec, exec, s[14:15]
	s_and_saveexec_b64 s[14:15], s[6:7]
	s_cbranch_execz .LBB20_1132
.LBB20_1131:
	v_lshlrev_b32_e32 v2, 24, v3
	v_and_b32_e32 v3, 0xffff, v3
	v_and_b32_e32 v4, 7, v3
	v_ffbh_u32_e32 v6, v4
	v_min_u32_e32 v6, 32, v6
	v_subrev_u32_e32 v11, 28, v6
	v_bfe_u32 v5, v3, 3, 4
	v_lshlrev_b32_e32 v3, v11, v3
	v_sub_u32_e32 v6, 29, v6
	v_and_b32_e32 v3, 7, v3
	v_cmp_eq_u32_e32 vcc, 0, v5
	v_cndmask_b32_e32 v5, v5, v6, vcc
	v_cndmask_b32_e32 v3, v4, v3, vcc
	v_mov_b32_e32 v4, 0x3b800000
	v_lshlrev_b32_e32 v3, 20, v3
	v_and_b32_e32 v2, 0x80000000, v2
	v_lshl_add_u32 v4, v5, 23, v4
	v_or3_b32 v2, v2, v4, v3
.LBB20_1132:
	s_or_b64 exec, exec, s[14:15]
.LBB20_1133:
	s_mov_b64 s[6:7], -1
.LBB20_1134:
	s_branch .LBB20_1166
.LBB20_1135:
	v_cmp_lt_i16_e32 vcc, 22, v8
	s_cbranch_vccz .LBB20_1145
; %bb.1136:
	v_cmp_gt_i16_e32 vcc, 24, v8
	s_cbranch_vccnz .LBB20_1148
; %bb.1137:
	v_cmp_lt_i16_e32 vcc, 24, v8
	s_cbranch_vccz .LBB20_1149
; %bb.1138:
	global_load_ubyte v3, v[0:1], off
	s_movk_i32 s4, 0x7f
                                        ; implicit-def: $sgpr20
	s_waitcnt vmcnt(0)
	v_cmp_lt_i16_e32 vcc, s4, v3
	s_mov_b64 s[4:5], 0
	s_and_saveexec_b64 s[6:7], vcc
	s_xor_b64 s[6:7], exec, s[6:7]
	s_cbranch_execz .LBB20_1160
; %bb.1139:
	s_movk_i32 s4, 0x80
	v_cmp_eq_u16_e32 vcc, s4, v3
	s_mov_b64 s[4:5], -1
                                        ; implicit-def: $sgpr20
	s_and_saveexec_b64 s[14:15], vcc
; %bb.1140:
	s_mov_b32 s20, 0x7f800001
	s_xor_b64 s[4:5], exec, -1
; %bb.1141:
	s_or_b64 exec, exec, s[14:15]
	s_and_b64 s[4:5], s[4:5], exec
	s_or_saveexec_b64 s[6:7], s[6:7]
	v_mov_b32_e32 v2, s20
	s_xor_b64 exec, exec, s[6:7]
	s_cbranch_execnz .LBB20_1161
.LBB20_1142:
	s_or_b64 exec, exec, s[6:7]
	s_and_saveexec_b64 s[6:7], s[4:5]
	s_cbranch_execz .LBB20_1144
.LBB20_1143:
	v_lshlrev_b32_e32 v2, 24, v3
	v_and_b32_e32 v3, 0xffff, v3
	v_and_b32_e32 v4, 3, v3
	v_ffbh_u32_e32 v6, v4
	v_min_u32_e32 v6, 32, v6
	v_subrev_u32_e32 v11, 29, v6
	v_bfe_u32 v5, v3, 2, 5
	v_lshlrev_b32_e32 v3, v11, v3
	v_sub_u32_e32 v6, 30, v6
	v_and_b32_e32 v3, 3, v3
	v_cmp_eq_u32_e32 vcc, 0, v5
	v_cndmask_b32_e32 v5, v5, v6, vcc
	v_cndmask_b32_e32 v3, v4, v3, vcc
	v_mov_b32_e32 v4, 0x37800000
	v_lshlrev_b32_e32 v3, 21, v3
	v_and_b32_e32 v2, 0x80000000, v2
	v_lshl_add_u32 v4, v5, 23, v4
	v_or3_b32 v2, v2, v4, v3
.LBB20_1144:
	s_or_b64 exec, exec, s[6:7]
	s_mov_b64 s[4:5], 0
	s_branch .LBB20_1150
.LBB20_1145:
                                        ; implicit-def: $vgpr2
	s_mov_b64 s[4:5], 0
	s_branch .LBB20_1156
.LBB20_1146:
	s_or_saveexec_b64 s[14:15], s[14:15]
	v_mov_b32_e32 v2, s22
	s_xor_b64 exec, exec, s[14:15]
	s_cbranch_execz .LBB20_1130
.LBB20_1147:
	v_cmp_ne_u16_e32 vcc, 0, v3
	s_andn2_b64 s[6:7], s[6:7], exec
	s_and_b64 s[20:21], vcc, exec
	v_mov_b32_e32 v2, 0
	s_or_b64 s[6:7], s[6:7], s[20:21]
	s_or_b64 exec, exec, s[14:15]
	s_and_saveexec_b64 s[14:15], s[6:7]
	s_cbranch_execnz .LBB20_1131
	s_branch .LBB20_1132
.LBB20_1148:
	s_mov_b64 s[4:5], -1
                                        ; implicit-def: $vgpr2
	s_branch .LBB20_1153
.LBB20_1149:
	s_mov_b64 s[4:5], -1
                                        ; implicit-def: $vgpr2
.LBB20_1150:
	s_and_b64 vcc, exec, s[4:5]
	s_cbranch_vccz .LBB20_1152
; %bb.1151:
	global_load_ubyte v2, v[0:1], off
	s_mov_b32 s4, 0x7f800000
	s_waitcnt vmcnt(0)
	v_lshlrev_b32_e32 v2, 24, v2
	v_and_b32_e32 v3, 0x7f000000, v2
	v_ffbh_u32_e32 v4, v3
	v_min_u32_e32 v4, 32, v4
	v_sub_u32_e64 v4, v4, 4 clamp
	v_lshlrev_b32_e32 v6, v4, v3
	v_lshlrev_b32_e32 v4, 23, v4
	v_lshrrev_b32_e32 v6, 4, v6
	v_add_u32_e32 v5, 0x1000000, v3
	v_sub_u32_e32 v4, v6, v4
	v_ashrrev_i32_e32 v5, 8, v5
	v_add_u32_e32 v4, 0x3c000000, v4
	v_and_or_b32 v4, v5, s4, v4
	v_cmp_ne_u32_e32 vcc, 0, v3
	v_cndmask_b32_e32 v3, 0, v4, vcc
	s_brev_b32 s4, 1
	v_and_or_b32 v2, v2, s4, v3
.LBB20_1152:
	s_mov_b64 s[4:5], 0
.LBB20_1153:
	s_andn2_b64 vcc, exec, s[4:5]
	s_cbranch_vccnz .LBB20_1155
; %bb.1154:
	global_load_ubyte v2, v[0:1], off
	s_movk_i32 s4, 0x7f00
	s_brev_b32 s5, 16
	s_waitcnt vmcnt(0)
	v_lshlrev_b16_e32 v3, 8, v2
	v_lshlrev_b32_e32 v2, 25, v2
	v_lshrrev_b32_e32 v4, 4, v2
	v_and_or_b32 v5, v3, s4, 0.5
	v_or_b32_e32 v4, 0x70000000, v4
	v_add_f32_e32 v5, -0.5, v5
	v_mul_f32_e32 v4, 0x7800000, v4
	v_cmp_gt_u32_e32 vcc, s5, v2
	v_bfe_i32 v3, v3, 0, 16
	v_cndmask_b32_e32 v2, v4, v5, vcc
	s_brev_b32 s4, 1
	v_and_or_b32 v2, v3, s4, v2
.LBB20_1155:
	s_mov_b64 s[6:7], -1
	s_mov_b64 s[4:5], 0
	s_cbranch_execnz .LBB20_1166
.LBB20_1156:
	v_cmp_lt_i16_e32 vcc, 14, v8
	s_cbranch_vccz .LBB20_1159
; %bb.1157:
	v_cmp_eq_u16_e32 vcc, 15, v8
	s_cbranch_vccz .LBB20_1162
; %bb.1158:
	global_load_ushort v2, v[0:1], off
	s_mov_b64 s[2:3], 0
	s_mov_b64 s[6:7], -1
	s_waitcnt vmcnt(0)
	v_lshlrev_b32_e32 v2, 16, v2
	s_branch .LBB20_1163
.LBB20_1159:
	s_mov_b64 s[14:15], -1
                                        ; implicit-def: $vgpr2
	s_branch .LBB20_1164
.LBB20_1160:
	s_or_saveexec_b64 s[6:7], s[6:7]
	v_mov_b32_e32 v2, s20
	s_xor_b64 exec, exec, s[6:7]
	s_cbranch_execz .LBB20_1142
.LBB20_1161:
	v_cmp_ne_u16_e32 vcc, 0, v3
	s_andn2_b64 s[4:5], s[4:5], exec
	s_and_b64 s[14:15], vcc, exec
	v_mov_b32_e32 v2, 0
	s_or_b64 s[4:5], s[4:5], s[14:15]
	s_or_b64 exec, exec, s[6:7]
	s_and_saveexec_b64 s[6:7], s[4:5]
	s_cbranch_execnz .LBB20_1143
	s_branch .LBB20_1144
.LBB20_1162:
	s_mov_b64 s[2:3], -1
                                        ; implicit-def: $vgpr2
.LBB20_1163:
	s_mov_b64 s[14:15], 0
.LBB20_1164:
	s_and_b64 vcc, exec, s[14:15]
	s_cbranch_vccz .LBB20_1166
; %bb.1165:
	v_cmp_ne_u16_e64 s[2:3], 11, v8
	s_mov_b64 s[4:5], -1
                                        ; implicit-def: $vgpr2
.LBB20_1166:
	s_and_b64 vcc, exec, s[2:3]
	s_mov_b64 s[20:21], s[16:17]
	s_cbranch_vccnz .LBB20_1243
; %bb.1167:
	s_andn2_b64 vcc, exec, s[4:5]
	s_cbranch_vccnz .LBB20_1169
.LBB20_1168:
	global_load_ubyte v2, v[0:1], off
	s_mov_b64 s[6:7], -1
	s_waitcnt vmcnt(0)
	v_cmp_ne_u16_e32 vcc, 0, v2
	v_cndmask_b32_e64 v2, 0, 1.0, vcc
.LBB20_1169:
	s_branch .LBB20_1099
.LBB20_1170:
	v_cmp_gt_i16_e32 vcc, 5, v8
	s_cbranch_vccnz .LBB20_1175
; %bb.1171:
	v_cmp_gt_i16_e32 vcc, 8, v8
	s_cbranch_vccnz .LBB20_1176
; %bb.1172:
	;; [unrolled: 3-line block ×3, first 2 shown]
	v_cmp_lt_i16_e32 vcc, 9, v8
	s_cbranch_vccz .LBB20_1178
; %bb.1174:
	global_load_dwordx2 v[2:3], v[0:1], off
	s_mov_b64 s[2:3], 0
	s_waitcnt vmcnt(0)
	v_cvt_f32_f64_e32 v2, v[2:3]
	s_branch .LBB20_1179
.LBB20_1175:
                                        ; implicit-def: $vgpr2
	s_branch .LBB20_1196
.LBB20_1176:
                                        ; implicit-def: $vgpr2
	s_branch .LBB20_1185
.LBB20_1177:
	s_mov_b64 s[2:3], -1
                                        ; implicit-def: $vgpr2
	s_branch .LBB20_1182
.LBB20_1178:
	s_mov_b64 s[2:3], -1
                                        ; implicit-def: $vgpr2
.LBB20_1179:
	s_andn2_b64 vcc, exec, s[2:3]
	s_cbranch_vccnz .LBB20_1181
; %bb.1180:
	global_load_dword v2, v[0:1], off
.LBB20_1181:
	s_mov_b64 s[2:3], 0
.LBB20_1182:
	s_andn2_b64 vcc, exec, s[2:3]
	s_cbranch_vccnz .LBB20_1184
; %bb.1183:
	global_load_dword v2, v[0:1], off
	s_waitcnt vmcnt(0)
	v_cvt_f32_f16_e32 v2, v2
.LBB20_1184:
	s_cbranch_execnz .LBB20_1195
.LBB20_1185:
	v_cmp_gt_i16_e32 vcc, 6, v8
	s_cbranch_vccnz .LBB20_1188
; %bb.1186:
	v_cmp_lt_i16_e32 vcc, 6, v8
	s_cbranch_vccz .LBB20_1189
; %bb.1187:
	global_load_dwordx2 v[2:3], v[0:1], off
	s_mov_b64 s[2:3], 0
	s_waitcnt vmcnt(0)
	v_cvt_f32_f64_e32 v2, v[2:3]
	s_branch .LBB20_1190
.LBB20_1188:
	s_mov_b64 s[2:3], -1
                                        ; implicit-def: $vgpr2
	s_branch .LBB20_1193
.LBB20_1189:
	s_mov_b64 s[2:3], -1
                                        ; implicit-def: $vgpr2
.LBB20_1190:
	s_andn2_b64 vcc, exec, s[2:3]
	s_cbranch_vccnz .LBB20_1192
; %bb.1191:
	global_load_dword v2, v[0:1], off
.LBB20_1192:
	s_mov_b64 s[2:3], 0
.LBB20_1193:
	s_andn2_b64 vcc, exec, s[2:3]
	s_cbranch_vccnz .LBB20_1195
; %bb.1194:
	global_load_ushort v2, v[0:1], off
	s_waitcnt vmcnt(0)
	v_cvt_f32_f16_e32 v2, v2
.LBB20_1195:
	s_cbranch_execnz .LBB20_1214
.LBB20_1196:
	v_cmp_gt_i16_e32 vcc, 2, v8
	s_cbranch_vccnz .LBB20_1200
; %bb.1197:
	v_cmp_gt_i16_e32 vcc, 3, v8
	s_cbranch_vccnz .LBB20_1201
; %bb.1198:
	v_cmp_lt_i16_e32 vcc, 3, v8
	s_cbranch_vccz .LBB20_1202
; %bb.1199:
	global_load_dwordx2 v[2:3], v[0:1], off
	s_mov_b64 s[2:3], 0
	s_waitcnt vmcnt(0)
	v_xor_b32_e32 v5, v2, v3
	v_ffbh_i32_e32 v4, v3
	v_ashrrev_i32_e32 v5, 31, v5
	v_add_u32_e32 v4, -1, v4
	v_add_u32_e32 v5, 32, v5
	v_min_u32_e32 v4, v4, v5
	v_lshlrev_b64 v[2:3], v4, v[2:3]
	v_min_u32_e32 v2, 1, v2
	v_or_b32_e32 v2, v3, v2
	v_cvt_f32_i32_e32 v2, v2
	v_sub_u32_e32 v3, 32, v4
	v_ldexp_f32 v2, v2, v3
	s_branch .LBB20_1203
.LBB20_1200:
                                        ; implicit-def: $vgpr2
	s_branch .LBB20_1209
.LBB20_1201:
	s_mov_b64 s[2:3], -1
                                        ; implicit-def: $vgpr2
	s_branch .LBB20_1206
.LBB20_1202:
	s_mov_b64 s[2:3], -1
                                        ; implicit-def: $vgpr2
.LBB20_1203:
	s_andn2_b64 vcc, exec, s[2:3]
	s_cbranch_vccnz .LBB20_1205
; %bb.1204:
	global_load_dword v2, v[0:1], off
	s_waitcnt vmcnt(0)
	v_cvt_f32_i32_e32 v2, v2
.LBB20_1205:
	s_mov_b64 s[2:3], 0
.LBB20_1206:
	s_andn2_b64 vcc, exec, s[2:3]
	s_cbranch_vccnz .LBB20_1208
; %bb.1207:
	global_load_sshort v2, v[0:1], off
	s_waitcnt vmcnt(0)
	v_cvt_f32_i32_e32 v2, v2
.LBB20_1208:
	s_cbranch_execnz .LBB20_1214
.LBB20_1209:
	v_cmp_lt_i16_e32 vcc, 0, v8
	s_cbranch_vccz .LBB20_1211
; %bb.1210:
	global_load_sbyte v2, v[0:1], off
	s_mov_b64 s[2:3], 0
	s_waitcnt vmcnt(0)
	v_cvt_f32_i32_e32 v2, v2
	s_branch .LBB20_1212
.LBB20_1211:
	s_mov_b64 s[2:3], -1
                                        ; implicit-def: $vgpr2
.LBB20_1212:
	s_andn2_b64 vcc, exec, s[2:3]
	s_cbranch_vccnz .LBB20_1214
; %bb.1213:
	global_load_ubyte v0, v[0:1], off
	s_waitcnt vmcnt(0)
	v_cvt_f32_ubyte0_e32 v2, v0
.LBB20_1214:
.LBB20_1215:
	s_waitcnt vmcnt(0)
	v_cmp_gt_f32_e32 vcc, 0, v2
	v_cndmask_b32_e64 v1, v2, -v2, vcc
	s_mov_b32 s2, 0x40a00000
	v_cmp_ge_f32_e32 vcc, s2, v1
	v_mul_f32_e32 v2, v1, v1
                                        ; implicit-def: $vgpr0
	s_and_saveexec_b64 s[2:3], vcc
	s_xor_b64 s[2:3], exec, s[2:3]
	s_cbranch_execz .LBB20_1221
; %bb.1216:
	s_mov_b32 s4, 0x3727c5ac
	v_cmp_ngt_f32_e32 vcc, s4, v1
                                        ; implicit-def: $vgpr0
	s_and_saveexec_b64 s[4:5], vcc
	s_xor_b64 s[4:5], exec, s[4:5]
	s_cbranch_execz .LBB20_1218
; %bb.1217:
	v_mov_b32_e32 v1, 0x43f9c815
	v_fmac_f32_e32 v1, 0, v2
	v_mov_b32_e32 v3, 0x4829b65a
	v_fmac_f32_e32 v3, v2, v1
	;; [unrolled: 2-line block ×4, first 2 shown]
	s_mov_b32 s6, 0xcf8ee29d
	v_mul_f32_e32 v0, 0, v2
	v_mul_f32_e32 v1, v2, v3
	s_mov_b32 s7, 0x53f5f59c
	v_pk_add_f32 v[0:1], v[0:1], s[6:7]
	s_mov_b32 s6, 0x53e3ba8e
	s_mov_b32 s7, 0x578d3514
	v_pk_fma_f32 v[0:1], v[2:3], v[0:1], s[6:7] op_sel_hi:[0,1,1]
	s_mov_b32 s6, 0xd762b0a7
	s_mov_b32 s7, 0x5ae20a0c
	v_pk_fma_f32 v[0:1], v[2:3], v[0:1], s[6:7] op_sel_hi:[0,1,1]
	;; [unrolled: 3-line block ×3, first 2 shown]
	s_mov_b32 s6, 0xc0b90fdc
	s_mov_b32 s7, 0xc1f3c525
	v_pk_add_f32 v[2:3], v[2:3], s[6:7] op_sel_hi:[0,1]
	v_mul_f32_e32 v2, v2, v3
	v_mul_f32_e32 v0, v2, v0
	v_div_scale_f32 v2, s[6:7], v1, v1, v0
	v_rcp_f32_e32 v3, v2
	v_fma_f32 v4, -v2, v3, 1.0
	v_fmac_f32_e32 v3, v4, v3
	v_div_scale_f32 v4, vcc, v0, v1, v0
	v_mul_f32_e32 v5, v4, v3
	v_fma_f32 v6, -v2, v5, v4
	v_fmac_f32_e32 v5, v6, v3
	v_fma_f32 v2, -v2, v5, v4
	v_div_fmas_f32 v2, v2, v3, v5
	v_div_fixup_f32 v0, v2, v1, v0
                                        ; implicit-def: $vgpr2
.LBB20_1218:
	s_andn2_saveexec_b64 s[4:5], s[4:5]
; %bb.1219:
	s_mov_b32 s6, 0xbe800000
	v_fma_f32 v0, v2, s6, 1.0
; %bb.1220:
	s_or_b64 exec, exec, s[4:5]
                                        ; implicit-def: $vgpr2
                                        ; implicit-def: $vgpr1
.LBB20_1221:
	s_andn2_saveexec_b64 s[14:15], s[2:3]
	s_cbranch_execz .LBB20_1231
; %bb.1222:
	v_add_f32_e32 v0, 0xbf490fdb, v1
	v_and_b32_e32 v3, 0x7fffffff, v0
	s_brev_b32 s2, 18
	v_cmp_nlt_f32_e64 s[22:23], |v0|, s2
	v_lshrrev_b32_e32 v12, 23, v3
                                        ; implicit-def: $vgpr4
                                        ; implicit-def: $vgpr5
	s_and_saveexec_b64 s[2:3], s[22:23]
	s_xor_b64 s[24:25], exec, s[2:3]
	s_cbranch_execz .LBB20_1224
; %bb.1223:
	v_add_u32_e32 v4, 0xffffff88, v12
	v_not_b32_e32 v6, 63
	v_cmp_lt_u32_e32 vcc, 63, v4
	v_cndmask_b32_e32 v6, 0, v6, vcc
	v_add_u32_e32 v4, v6, v4
	v_not_b32_e32 v6, 31
	v_cmp_lt_u32_e64 s[2:3], 31, v4
	v_cndmask_b32_e64 v11, 0, v6, s[2:3]
	v_add_u32_e32 v4, v11, v4
	v_cmp_lt_u32_e64 s[4:5], 31, v4
	v_cndmask_b32_e64 v6, 0, v6, s[4:5]
	v_add_u32_e32 v6, v6, v4
	v_and_b32_e32 v4, 0x7fffff, v3
	v_or_b32_e32 v11, 0x800000, v4
	s_mov_b32 s6, 0xfe5163ab
	v_mad_u64_u32 v[14:15], s[6:7], v11, s6, 0
	v_mov_b32_e32 v5, 0
	v_mov_b32_e32 v4, v15
	s_mov_b32 s6, 0x3c439041
	v_mad_u64_u32 v[16:17], s[6:7], v11, s6, v[4:5]
	v_mov_b32_e32 v4, v17
	s_mov_b32 s6, 0xdb629599
	v_mad_u64_u32 v[18:19], s[6:7], v11, s6, v[4:5]
	;; [unrolled: 3-line block ×6, first 2 shown]
	v_cndmask_b32_e32 v13, v24, v20, vcc
	v_cndmask_b32_e32 v4, v4, v22, vcc
	;; [unrolled: 1-line block ×3, first 2 shown]
	v_cndmask_b32_e64 v11, v4, v13, s[2:3]
	v_cndmask_b32_e64 v4, v5, v4, s[2:3]
	v_cndmask_b32_e32 v5, v22, v18, vcc
	v_cndmask_b32_e64 v13, v13, v5, s[2:3]
	v_sub_u32_e32 v15, 32, v6
	v_cmp_eq_u32_e64 s[6:7], 0, v6
	v_cndmask_b32_e32 v6, v20, v16, vcc
	v_cndmask_b32_e64 v4, v4, v11, s[4:5]
	v_cndmask_b32_e64 v11, v11, v13, s[4:5]
	;; [unrolled: 1-line block ×3, first 2 shown]
	v_alignbit_b32 v17, v4, v11, v15
	v_cndmask_b32_e64 v13, v13, v5, s[4:5]
	v_cndmask_b32_e64 v4, v17, v4, s[6:7]
	v_alignbit_b32 v16, v11, v13, v15
	v_cndmask_b32_e32 v14, v18, v14, vcc
	v_cndmask_b32_e64 v11, v16, v11, s[6:7]
	v_bfe_u32 v19, v4, 29, 1
	v_cndmask_b32_e64 v6, v6, v14, s[2:3]
	v_alignbit_b32 v16, v4, v11, 30
	v_sub_u32_e32 v20, 0, v19
	v_cndmask_b32_e64 v5, v5, v6, s[4:5]
	v_xor_b32_e32 v21, v16, v20
	v_alignbit_b32 v6, v13, v5, v15
	v_cndmask_b32_e64 v6, v6, v13, s[6:7]
	v_ffbh_u32_e32 v13, v21
	v_add_u32_e32 v13, 1, v13
	v_cmp_ne_u32_e32 vcc, v16, v20
	v_alignbit_b32 v11, v11, v6, 30
	v_cndmask_b32_e32 v13, 33, v13, vcc
	v_alignbit_b32 v5, v6, v5, 30
	v_xor_b32_e32 v11, v11, v20
	v_sub_u32_e32 v14, 32, v13
	v_xor_b32_e32 v5, v5, v20
	v_alignbit_b32 v15, v21, v11, v14
	v_alignbit_b32 v5, v11, v5, v14
	v_alignbit_b32 v6, v15, v5, 9
	v_ffbh_u32_e32 v11, v6
	v_min_u32_e32 v11, 32, v11
	v_lshrrev_b32_e32 v17, 29, v4
	v_sub_u32_e32 v14, 31, v11
	v_alignbit_b32 v5, v6, v5, v14
	v_lshlrev_b32_e32 v6, 31, v17
	v_or_b32_e32 v14, 0x33800000, v6
	v_add_lshl_u32 v11, v11, v13, 23
	v_lshrrev_b32_e32 v5, 9, v5
	v_sub_u32_e32 v11, v14, v11
	v_or_b32_e32 v5, v11, v5
	v_alignbit_b32 v11, v13, v15, 9
	v_or_b32_e32 v6, v11, v6
	v_xor_b32_e32 v6, 1.0, v6
	s_mov_b32 s2, 0x3fc90fda
	v_mul_f32_e32 v11, 0x3fc90fda, v6
	v_fma_f32 v13, v6, s2, -v11
	v_fmac_f32_e32 v13, 0x33a22168, v6
	v_fmac_f32_e32 v13, 0x3fc90fda, v5
	v_lshrrev_b32_e32 v4, 30, v4
	v_add_f32_e32 v5, v11, v13
	v_add_u32_e32 v4, v19, v4
	s_andn2_saveexec_b64 s[2:3], s[24:25]
	s_branch .LBB20_1225
.LBB20_1224:
	s_andn2_saveexec_b64 s[2:3], s[24:25]
.LBB20_1225:
	s_mov_b32 s4, 0x3f22f983
	v_mul_f32_e64 v4, |v0|, s4
	v_rndne_f32_e32 v6, v4
	s_mov_b32 s4, 0xbfc90fda
	v_cvt_i32_f32_e32 v4, v6
	v_fma_f32 v5, v6, s4, |v0|
	v_fmac_f32_e32 v5, 0xb3a22168, v6
	v_fmac_f32_e32 v5, 0xa7c234c4, v6
; %bb.1226:
	s_or_b64 exec, exec, s[2:3]
                                        ; implicit-def: $vgpr6
                                        ; implicit-def: $vgpr11
	s_and_saveexec_b64 s[2:3], s[22:23]
	s_xor_b64 s[22:23], exec, s[2:3]
	s_cbranch_execz .LBB20_1228
; %bb.1227:
	v_add_u32_e32 v6, 0xffffff88, v12
	v_not_b32_e32 v11, 63
	v_cmp_lt_u32_e32 vcc, 63, v6
	v_cndmask_b32_e32 v11, 0, v11, vcc
	v_add_u32_e32 v6, v11, v6
	v_not_b32_e32 v11, 31
	v_cmp_lt_u32_e64 s[2:3], 31, v6
	v_cndmask_b32_e64 v12, 0, v11, s[2:3]
	v_add_u32_e32 v6, v12, v6
	v_cmp_lt_u32_e64 s[4:5], 31, v6
	v_cndmask_b32_e64 v11, 0, v11, s[4:5]
	v_add_u32_e32 v6, v11, v6
	v_and_b32_e32 v11, 0x7fffff, v3
	v_or_b32_e32 v11, 0x800000, v11
	s_mov_b32 s6, 0xfe5163ab
	v_mad_u64_u32 v[14:15], s[6:7], v11, s6, 0
	v_mov_b32_e32 v13, 0
	v_mov_b32_e32 v12, v15
	s_mov_b32 s6, 0x3c439041
	v_mad_u64_u32 v[16:17], s[6:7], v11, s6, v[12:13]
	v_mov_b32_e32 v12, v17
	s_mov_b32 s6, 0xdb629599
	v_mad_u64_u32 v[18:19], s[6:7], v11, s6, v[12:13]
	;; [unrolled: 3-line block ×6, first 2 shown]
	v_cndmask_b32_e32 v15, v24, v20, vcc
	v_cndmask_b32_e32 v11, v12, v22, vcc
	;; [unrolled: 1-line block ×3, first 2 shown]
	v_cndmask_b32_e64 v12, v11, v15, s[2:3]
	v_cndmask_b32_e64 v11, v13, v11, s[2:3]
	v_cndmask_b32_e32 v13, v22, v18, vcc
	v_cndmask_b32_e64 v15, v15, v13, s[2:3]
	v_cndmask_b32_e64 v11, v11, v12, s[4:5]
	;; [unrolled: 1-line block ×3, first 2 shown]
	v_sub_u32_e32 v17, 32, v6
	v_alignbit_b32 v19, v11, v12, v17
	v_cmp_eq_u32_e64 s[6:7], 0, v6
	v_cndmask_b32_e64 v6, v19, v11, s[6:7]
	v_cndmask_b32_e32 v11, v20, v16, vcc
	v_cndmask_b32_e64 v13, v13, v11, s[2:3]
	v_cndmask_b32_e64 v15, v15, v13, s[4:5]
	v_alignbit_b32 v16, v12, v15, v17
	v_cndmask_b32_e64 v12, v16, v12, s[6:7]
	v_bfe_u32 v20, v6, 29, 1
	v_cndmask_b32_e32 v14, v18, v14, vcc
	v_alignbit_b32 v16, v6, v12, 30
	v_sub_u32_e32 v21, 0, v20
	v_cndmask_b32_e64 v11, v11, v14, s[2:3]
	v_xor_b32_e32 v22, v16, v21
	v_cndmask_b32_e64 v11, v13, v11, s[4:5]
	v_alignbit_b32 v13, v15, v11, v17
	v_ffbh_u32_e32 v14, v22
	v_cndmask_b32_e64 v13, v13, v15, s[6:7]
	v_add_u32_e32 v14, 1, v14
	v_cmp_ne_u32_e32 vcc, v16, v21
	v_alignbit_b32 v12, v12, v13, 30
	v_cndmask_b32_e32 v14, 33, v14, vcc
	v_alignbit_b32 v11, v13, v11, 30
	v_xor_b32_e32 v12, v12, v21
	v_sub_u32_e32 v15, 32, v14
	v_xor_b32_e32 v11, v11, v21
	v_alignbit_b32 v16, v22, v12, v15
	v_alignbit_b32 v11, v12, v11, v15
	;; [unrolled: 1-line block ×3, first 2 shown]
	v_ffbh_u32_e32 v13, v12
	v_min_u32_e32 v13, 32, v13
	v_lshrrev_b32_e32 v19, 29, v6
	v_sub_u32_e32 v15, 31, v13
	v_alignbit_b32 v11, v12, v11, v15
	v_lshlrev_b32_e32 v12, 31, v19
	v_or_b32_e32 v15, 0x33800000, v12
	v_add_lshl_u32 v13, v13, v14, 23
	v_lshrrev_b32_e32 v11, 9, v11
	v_sub_u32_e32 v13, v15, v13
	v_or_b32_e32 v11, v13, v11
	v_alignbit_b32 v13, v14, v16, 9
	v_or_b32_e32 v12, v13, v12
	v_xor_b32_e32 v12, 1.0, v12
	s_mov_b32 s2, 0x3fc90fda
	v_mul_f32_e32 v13, 0x3fc90fda, v12
	v_fma_f32 v14, v12, s2, -v13
	v_fmac_f32_e32 v14, 0x33a22168, v12
	v_fmac_f32_e32 v14, 0x3fc90fda, v11
	v_lshrrev_b32_e32 v6, 30, v6
	v_add_f32_e32 v11, v13, v14
	v_add_u32_e32 v6, v20, v6
	s_andn2_saveexec_b64 s[2:3], s[22:23]
	s_cbranch_execnz .LBB20_1229
	s_branch .LBB20_1230
.LBB20_1228:
	s_andn2_saveexec_b64 s[2:3], s[22:23]
.LBB20_1229:
	s_mov_b32 s4, 0x3f22f983
	v_mul_f32_e64 v6, |v0|, s4
	v_rndne_f32_e32 v12, v6
	s_mov_b32 s4, 0xbfc90fda
	v_cvt_i32_f32_e32 v6, v12
	v_fma_f32 v11, v12, s4, |v0|
	v_fmac_f32_e32 v11, 0xb3a22168, v12
	v_fmac_f32_e32 v11, 0xa7c234c4, v12
.LBB20_1230:
	s_or_b64 exec, exec, s[2:3]
	s_mov_b32 s4, 0x41c80000
	v_div_scale_f32 v12, s[2:3], v2, v2, s4
	v_rcp_f32_e32 v13, v12
	v_div_scale_f32 v14, vcc, s4, v2, s4
	v_mov_b32_e32 v20, 0xbf000004
	v_fma_f32 v15, -v12, v13, 1.0
	v_fmac_f32_e32 v13, v15, v13
	v_mul_f32_e32 v15, v14, v13
	v_fma_f32 v16, -v12, v15, v14
	v_fmac_f32_e32 v15, v16, v13
	v_fma_f32 v12, -v12, v15, v14
	v_div_fmas_f32 v12, v12, v13, v15
	v_div_fixup_f32 v2, v12, v2, s4
	v_mov_b32_e32 v12, 0x3a50e985
	v_fmac_f32_e32 v12, 0, v2
	v_mov_b32_e32 v13, 0x3da9a586
	v_fmac_f32_e32 v13, v2, v12
	;; [unrolled: 2-line block ×12, first 2 shown]
	v_fma_f32 v12, v2, v14, 1.0
	v_mov_b32_e32 v14, 0xbc3a3a12
	v_fmac_f32_e32 v14, 0, v2
	v_mov_b32_e32 v15, 0xbfa429da
	v_fmac_f32_e32 v15, v2, v14
	;; [unrolled: 2-line block ×9, first 2 shown]
	v_mov_b32_e32 v16, 0x44561b86
	v_fma_f32 v13, v2, v13, 1.0
	v_fmac_f32_e32 v16, v2, v14
	v_mov_b32_e32 v14, 0x4572a66e
	v_div_scale_f32 v17, s[2:3], v12, v12, v13
	v_fmac_f32_e32 v14, v2, v16
	v_mov_b32_e32 v16, 0x45e243be
	v_rcp_f32_e32 v18, v17
	v_fmac_f32_e32 v16, v2, v14
	v_mov_b32_e32 v14, 0x45b955d1
	v_fmac_f32_e32 v14, v2, v16
	v_mov_b32_e32 v16, 0x4500e17e
	v_fmac_f32_e32 v16, v2, v14
	v_mov_b32_e32 v14, 0x43720178
	v_fmac_f32_e32 v14, v2, v16
	v_fma_f32 v2, -v17, v18, 1.0
	v_fmac_f32_e32 v18, v2, v18
	v_div_scale_f32 v2, vcc, v13, v12, v13
	v_mul_f32_e32 v16, v2, v18
	v_fma_f32 v19, -v17, v16, v2
	v_fmac_f32_e32 v16, v19, v18
	v_fma_f32 v2, -v17, v16, v2
	v_div_fmas_f32 v2, v2, v18, v16
	v_div_fixup_f32 v2, v2, v12, v13
	v_mul_f32_e32 v12, v5, v5
	v_mov_b32_e32 v18, 0xbab64f3b
	v_mov_b32_e32 v16, 0x3c0881c4
	v_fmac_f32_e32 v18, 0x37d75334, v12
	v_mov_b32_e32 v19, 0x3d2aabf7
	v_fmac_f32_e32 v16, 0xb94c1982, v12
	v_mov_b32_e32 v17, 0xbe2aaa9d
	v_fma_f32 v18, v12, v18, v19
	v_fma_f32 v16, v12, v16, v17
	;; [unrolled: 1-line block ×3, first 2 shown]
	v_mul_f32_e32 v16, v12, v16
	v_fma_f32 v12, v12, v18, 1.0
	v_and_b32_e32 v18, 1, v4
	v_fmac_f32_e32 v5, v5, v16
	v_cmp_eq_u32_e32 vcc, 0, v18
	v_lshlrev_b32_e32 v4, 30, v4
	v_cndmask_b32_e64 v5, -v5, v12, vcc
	v_and_b32_e32 v4, 0x80000000, v4
	s_mov_b32 s6, 0xc0a00000
	v_xor_b32_e32 v4, v4, v5
	v_div_scale_f32 v5, s[2:3], v1, v1, s6
	v_rcp_f32_e32 v12, v5
	s_movk_i32 s4, 0x1f8
	v_cmp_class_f32_e64 s[2:3], v0, s4
	v_mov_b32_e32 v13, 0x3c0881c4
	v_fma_f32 v21, -v5, v12, 1.0
	v_fmac_f32_e32 v12, v21, v12
	v_div_scale_f32 v21, vcc, s6, v1, s6
	v_mul_f32_e32 v22, v21, v12
	v_fma_f32 v23, -v5, v22, v21
	v_fmac_f32_e32 v22, v23, v12
	v_fma_f32 v5, -v5, v22, v21
	v_div_scale_f32 v21, s[4:5], v14, v14, v15
	v_rcp_f32_e32 v23, v21
	v_div_fmas_f32 v5, v5, v12, v22
	v_div_fixup_f32 v5, v5, v1, s6
	v_mov_b32_e32 v16, 0xbab64f3b
	v_fma_f32 v12, -v21, v23, 1.0
	v_fmac_f32_e32 v23, v12, v23
	v_div_scale_f32 v12, vcc, v15, v14, v15
	v_mul_f32_e32 v22, v12, v23
	v_fma_f32 v24, -v21, v22, v12
	v_fmac_f32_e32 v22, v24, v23
	v_fma_f32 v12, -v21, v22, v12
	v_div_fmas_f32 v12, v12, v23, v22
	v_div_fixup_f32 v12, v12, v14, v15
	v_mul_f32_e32 v5, v5, v12
	v_mul_f32_e32 v12, v11, v11
	v_fmac_f32_e32 v13, 0xb94c1982, v12
	v_fmac_f32_e32 v17, v12, v13
	;; [unrolled: 1-line block ×3, first 2 shown]
	v_mul_f32_e32 v13, v12, v17
	v_fmac_f32_e32 v19, v12, v16
	v_fmac_f32_e32 v11, v11, v13
	;; [unrolled: 1-line block ×3, first 2 shown]
	v_and_b32_e32 v13, 1, v6
	v_lshlrev_b32_e32 v6, 30, v6
	v_fma_f32 v12, v12, v20, 1.0
	v_cmp_eq_u32_e32 vcc, 0, v13
	v_and_b32_e32 v6, 0x80000000, v6
	v_xor_b32_e32 v0, v3, v0
	v_cndmask_b32_e32 v11, v12, v11, vcc
	v_xor_b32_e32 v0, v0, v6
	v_mov_b32_e32 v18, 0x7fc00000
	v_xor_b32_e32 v0, v0, v11
	v_cndmask_b32_e64 v4, v18, v4, s[2:3]
	v_cndmask_b32_e64 v0, v18, v0, s[2:3]
	s_mov_b32 s2, 0xf800000
	v_mul_f32_e32 v3, 0x4f800000, v1
	v_cmp_gt_f32_e32 vcc, s2, v1
	v_cndmask_b32_e32 v1, v1, v3, vcc
	v_sqrt_f32_e32 v3, v1
	v_mul_f32_e32 v0, v5, v0
	v_fmac_f32_e32 v0, v2, v4
	v_mul_f32_e32 v0, 0x3f4c422a, v0
	v_add_u32_e32 v2, -1, v3
	v_fma_f32 v4, -v2, v3, v1
	v_cmp_ge_f32_e64 s[2:3], 0, v4
	v_add_u32_e32 v4, 1, v3
	v_cndmask_b32_e64 v2, v3, v2, s[2:3]
	v_fma_f32 v3, -v4, v3, v1
	v_cmp_lt_f32_e64 s[2:3], 0, v3
	v_cndmask_b32_e64 v2, v2, v4, s[2:3]
	v_mul_f32_e32 v3, 0x37800000, v2
	v_cndmask_b32_e32 v2, v2, v3, vcc
	v_mov_b32_e32 v3, 0x260
	v_cmp_class_f32_e32 vcc, v1, v3
	v_cndmask_b32_e32 v1, v2, v1, vcc
	v_div_scale_f32 v2, s[2:3], v1, v1, v0
	v_rcp_f32_e32 v3, v2
	v_fma_f32 v4, -v2, v3, 1.0
	v_fmac_f32_e32 v3, v4, v3
	v_div_scale_f32 v4, vcc, v0, v1, v0
	v_mul_f32_e32 v5, v4, v3
	v_fma_f32 v6, -v2, v5, v4
	v_fmac_f32_e32 v5, v6, v3
	v_fma_f32 v2, -v2, v5, v4
	v_div_fmas_f32 v2, v2, v3, v5
	v_div_fixup_f32 v0, v2, v1, v0
.LBB20_1231:
	s_or_b64 exec, exec, s[14:15]
	v_add_u32_e32 v1, 0x80, v9
	v_mul_lo_u32 v1, s13, v1
	v_ashrrev_i32_e32 v3, 31, v1
	v_mov_b32_e32 v4, s11
	v_add_co_u32_e32 v2, vcc, s10, v1
	v_addc_co_u32_e32 v3, vcc, v4, v3, vcc
	s_and_b64 vcc, exec, s[0:1]
	s_cbranch_vccnz .LBB20_1238
; %bb.1232:
	v_cmp_lt_i16_e32 vcc, 25, v8
	s_mov_b64 s[4:5], 0
	s_cbranch_vccz .LBB20_1240
; %bb.1233:
	v_cmp_lt_i16_e32 vcc, 28, v8
	s_cbranch_vccz .LBB20_1241
; %bb.1234:
	v_cmp_lt_i16_e32 vcc, 43, v8
	;; [unrolled: 3-line block ×3, first 2 shown]
	s_cbranch_vccz .LBB20_1244
; %bb.1236:
	v_cmp_eq_u16_e32 vcc, 46, v8
	s_mov_b64 s[14:15], 0
	s_cbranch_vccz .LBB20_1247
; %bb.1237:
	global_load_dword v1, v[2:3], off
	s_mov_b64 s[2:3], 0
	s_mov_b64 s[6:7], -1
	s_waitcnt vmcnt(0)
	v_lshlrev_b32_e32 v1, 16, v1
	s_branch .LBB20_1248
.LBB20_1238:
	s_mov_b64 s[6:7], 0
                                        ; implicit-def: $vgpr1
	s_cbranch_execnz .LBB20_1313
.LBB20_1239:
	s_andn2_b64 vcc, exec, s[6:7]
	s_cbranch_vccnz .LBB20_1660
	s_branch .LBB20_1360
.LBB20_1240:
	s_mov_b64 s[6:7], 0
	s_mov_b64 s[2:3], 0
                                        ; implicit-def: $vgpr1
	s_cbranch_execnz .LBB20_1277
	s_branch .LBB20_1309
.LBB20_1241:
	s_mov_b64 s[14:15], -1
	s_mov_b64 s[6:7], 0
	s_mov_b64 s[2:3], 0
                                        ; implicit-def: $vgpr1
	s_branch .LBB20_1258
.LBB20_1242:
	s_mov_b64 s[14:15], -1
	s_mov_b64 s[6:7], 0
	s_mov_b64 s[2:3], 0
                                        ; implicit-def: $vgpr1
	s_branch .LBB20_1253
.LBB20_1243:
	s_or_b64 s[20:21], s[16:17], exec
	s_trap 2
                                        ; implicit-def: $vgpr2
	s_cbranch_execz .LBB20_1168
	s_branch .LBB20_1169
.LBB20_1244:
	s_mov_b64 s[14:15], -1
	s_mov_b64 s[6:7], 0
	s_mov_b64 s[2:3], 0
                                        ; implicit-def: $vgpr1
	s_branch .LBB20_1248
.LBB20_1245:
	s_or_saveexec_b64 s[24:25], s[24:25]
                                        ; implicit-def: $sgpr26
	s_xor_b64 exec, exec, s[24:25]
	s_cbranch_execz .LBB20_1015
.LBB20_1246:
	s_mov_b32 s26, 0x42800000
	v_add_f32_e64 v1, |v0|, s26
	v_and_b32_e32 v1, 0xff, v1
	v_cmp_ne_u32_e32 vcc, 0, v1
	s_andn2_b64 s[22:23], s[22:23], exec
	s_and_b64 s[28:29], vcc, exec
	s_mov_b32 s26, 0
	s_or_b64 s[22:23], s[22:23], s[28:29]
	s_or_b64 exec, exec, s[24:25]
	v_mov_b32_e32 v5, s26
	s_and_saveexec_b64 s[24:25], s[22:23]
	s_cbranch_execnz .LBB20_1016
	s_branch .LBB20_1017
.LBB20_1247:
	s_mov_b64 s[2:3], -1
                                        ; implicit-def: $vgpr1
	s_mov_b64 s[6:7], 0
.LBB20_1248:
	s_and_b64 vcc, exec, s[14:15]
	s_cbranch_vccz .LBB20_1252
; %bb.1249:
	v_cmp_eq_u16_e32 vcc, 44, v8
	s_cbranch_vccz .LBB20_1251
; %bb.1250:
	global_load_ubyte v1, v[2:3], off
	s_movk_i32 s6, 0xff
	v_mov_b32_e32 v4, 0x7f800001
	v_mov_b32_e32 v5, 0x400000
	s_mov_b64 s[2:3], 0
	s_waitcnt vmcnt(0)
	v_lshlrev_b32_e32 v6, 23, v1
	v_cmp_ne_u32_e32 vcc, s6, v1
	v_cndmask_b32_e32 v4, v4, v6, vcc
	v_cmp_ne_u32_e32 vcc, 0, v1
	v_cndmask_b32_e32 v1, v5, v4, vcc
	s_mov_b64 s[6:7], -1
	s_branch .LBB20_1252
.LBB20_1251:
	s_mov_b64 s[2:3], -1
                                        ; implicit-def: $vgpr1
.LBB20_1252:
	s_mov_b64 s[14:15], 0
.LBB20_1253:
	s_and_b64 vcc, exec, s[14:15]
	s_cbranch_vccz .LBB20_1257
; %bb.1254:
	v_cmp_eq_u16_e32 vcc, 29, v8
	s_cbranch_vccz .LBB20_1256
; %bb.1255:
	global_load_dwordx2 v[4:5], v[2:3], off
	s_mov_b64 s[2:3], 0
	s_mov_b64 s[6:7], -1
	s_mov_b64 s[14:15], 0
	s_waitcnt vmcnt(0)
	v_ffbh_u32_e32 v1, v5
	v_min_u32_e32 v1, 32, v1
	v_lshlrev_b64 v[4:5], v1, v[4:5]
	v_min_u32_e32 v4, 1, v4
	v_or_b32_e32 v4, v5, v4
	v_cvt_f32_u32_e32 v4, v4
	v_sub_u32_e32 v1, 32, v1
	v_ldexp_f32 v1, v4, v1
	s_branch .LBB20_1258
.LBB20_1256:
	s_mov_b64 s[2:3], -1
                                        ; implicit-def: $vgpr1
.LBB20_1257:
	s_mov_b64 s[14:15], 0
.LBB20_1258:
	s_and_b64 vcc, exec, s[14:15]
	s_cbranch_vccz .LBB20_1276
; %bb.1259:
	v_cmp_gt_i16_e32 vcc, 27, v8
	s_cbranch_vccnz .LBB20_1262
; %bb.1260:
	v_cmp_lt_i16_e32 vcc, 27, v8
	s_cbranch_vccz .LBB20_1263
; %bb.1261:
	global_load_dword v1, v[2:3], off
	s_mov_b64 s[6:7], 0
	s_waitcnt vmcnt(0)
	v_cvt_f32_u32_e32 v1, v1
	s_branch .LBB20_1264
.LBB20_1262:
	s_mov_b64 s[6:7], -1
                                        ; implicit-def: $vgpr1
	s_branch .LBB20_1267
.LBB20_1263:
	s_mov_b64 s[6:7], -1
                                        ; implicit-def: $vgpr1
.LBB20_1264:
	s_andn2_b64 vcc, exec, s[6:7]
	s_cbranch_vccnz .LBB20_1266
; %bb.1265:
	global_load_ushort v1, v[2:3], off
	s_waitcnt vmcnt(0)
	v_cvt_f32_u32_e32 v1, v1
.LBB20_1266:
	s_mov_b64 s[6:7], 0
.LBB20_1267:
	s_andn2_b64 vcc, exec, s[6:7]
	s_cbranch_vccnz .LBB20_1275
; %bb.1268:
	global_load_ubyte v4, v[2:3], off
	s_movk_i32 s6, 0x7f
                                        ; implicit-def: $sgpr24
	s_waitcnt vmcnt(0)
	v_cmp_lt_i16_e32 vcc, s6, v4
	s_mov_b64 s[6:7], 0
	s_and_saveexec_b64 s[14:15], vcc
	s_xor_b64 s[14:15], exec, s[14:15]
	s_cbranch_execz .LBB20_1288
; %bb.1269:
	s_movk_i32 s6, 0x80
	v_cmp_eq_u16_e32 vcc, s6, v4
	s_mov_b64 s[6:7], -1
                                        ; implicit-def: $sgpr24
	s_and_saveexec_b64 s[22:23], vcc
; %bb.1270:
	s_mov_b32 s24, 0x7f800001
	s_xor_b64 s[6:7], exec, -1
; %bb.1271:
	s_or_b64 exec, exec, s[22:23]
	s_and_b64 s[6:7], s[6:7], exec
	s_or_saveexec_b64 s[14:15], s[14:15]
	v_mov_b32_e32 v1, s24
	s_xor_b64 exec, exec, s[14:15]
	s_cbranch_execnz .LBB20_1289
.LBB20_1272:
	s_or_b64 exec, exec, s[14:15]
	s_and_saveexec_b64 s[14:15], s[6:7]
	s_cbranch_execz .LBB20_1274
.LBB20_1273:
	v_lshlrev_b32_e32 v1, 24, v4
	v_and_b32_e32 v4, 0xffff, v4
	v_and_b32_e32 v5, 7, v4
	v_ffbh_u32_e32 v11, v5
	v_min_u32_e32 v11, 32, v11
	v_subrev_u32_e32 v12, 28, v11
	v_bfe_u32 v6, v4, 3, 4
	v_lshlrev_b32_e32 v4, v12, v4
	v_sub_u32_e32 v11, 29, v11
	v_and_b32_e32 v4, 7, v4
	v_cmp_eq_u32_e32 vcc, 0, v6
	v_cndmask_b32_e32 v6, v6, v11, vcc
	v_cndmask_b32_e32 v4, v5, v4, vcc
	v_mov_b32_e32 v5, 0x3b800000
	v_lshlrev_b32_e32 v4, 20, v4
	v_and_b32_e32 v1, 0x80000000, v1
	v_lshl_add_u32 v5, v6, 23, v5
	v_or3_b32 v1, v1, v5, v4
.LBB20_1274:
	s_or_b64 exec, exec, s[14:15]
.LBB20_1275:
	s_mov_b64 s[6:7], -1
.LBB20_1276:
	s_branch .LBB20_1309
.LBB20_1277:
	v_cmp_lt_i16_e32 vcc, 22, v8
	s_cbranch_vccz .LBB20_1287
; %bb.1278:
	v_cmp_gt_i16_e32 vcc, 24, v8
	s_cbranch_vccnz .LBB20_1290
; %bb.1279:
	v_cmp_lt_i16_e32 vcc, 24, v8
	s_cbranch_vccz .LBB20_1291
; %bb.1280:
	global_load_ubyte v4, v[2:3], off
	s_movk_i32 s4, 0x7f
                                        ; implicit-def: $sgpr22
	s_waitcnt vmcnt(0)
	v_cmp_lt_i16_e32 vcc, s4, v4
	s_mov_b64 s[4:5], 0
	s_and_saveexec_b64 s[6:7], vcc
	s_xor_b64 s[6:7], exec, s[6:7]
	s_cbranch_execz .LBB20_1303
; %bb.1281:
	s_movk_i32 s4, 0x80
	v_cmp_eq_u16_e32 vcc, s4, v4
	s_mov_b64 s[4:5], -1
                                        ; implicit-def: $sgpr22
	s_and_saveexec_b64 s[14:15], vcc
; %bb.1282:
	s_mov_b32 s22, 0x7f800001
	s_xor_b64 s[4:5], exec, -1
; %bb.1283:
	s_or_b64 exec, exec, s[14:15]
	s_and_b64 s[4:5], s[4:5], exec
	s_or_saveexec_b64 s[6:7], s[6:7]
	v_mov_b32_e32 v1, s22
	s_xor_b64 exec, exec, s[6:7]
	s_cbranch_execnz .LBB20_1304
.LBB20_1284:
	s_or_b64 exec, exec, s[6:7]
	s_and_saveexec_b64 s[6:7], s[4:5]
	s_cbranch_execz .LBB20_1286
.LBB20_1285:
	v_lshlrev_b32_e32 v1, 24, v4
	v_and_b32_e32 v4, 0xffff, v4
	v_and_b32_e32 v5, 3, v4
	v_ffbh_u32_e32 v11, v5
	v_min_u32_e32 v11, 32, v11
	v_subrev_u32_e32 v12, 29, v11
	v_bfe_u32 v6, v4, 2, 5
	v_lshlrev_b32_e32 v4, v12, v4
	v_sub_u32_e32 v11, 30, v11
	v_and_b32_e32 v4, 3, v4
	v_cmp_eq_u32_e32 vcc, 0, v6
	v_cndmask_b32_e32 v6, v6, v11, vcc
	v_cndmask_b32_e32 v4, v5, v4, vcc
	v_mov_b32_e32 v5, 0x37800000
	v_lshlrev_b32_e32 v4, 21, v4
	v_and_b32_e32 v1, 0x80000000, v1
	v_lshl_add_u32 v5, v6, 23, v5
	v_or3_b32 v1, v1, v5, v4
.LBB20_1286:
	s_or_b64 exec, exec, s[6:7]
	s_mov_b64 s[4:5], 0
	s_branch .LBB20_1292
.LBB20_1287:
	s_mov_b64 s[4:5], -1
                                        ; implicit-def: $vgpr1
	s_branch .LBB20_1298
.LBB20_1288:
	s_or_saveexec_b64 s[14:15], s[14:15]
	v_mov_b32_e32 v1, s24
	s_xor_b64 exec, exec, s[14:15]
	s_cbranch_execz .LBB20_1272
.LBB20_1289:
	v_cmp_ne_u16_e32 vcc, 0, v4
	s_andn2_b64 s[6:7], s[6:7], exec
	s_and_b64 s[22:23], vcc, exec
	v_mov_b32_e32 v1, 0
	s_or_b64 s[6:7], s[6:7], s[22:23]
	s_or_b64 exec, exec, s[14:15]
	s_and_saveexec_b64 s[14:15], s[6:7]
	s_cbranch_execnz .LBB20_1273
	s_branch .LBB20_1274
.LBB20_1290:
	s_mov_b64 s[4:5], -1
                                        ; implicit-def: $vgpr1
	s_branch .LBB20_1295
.LBB20_1291:
	s_mov_b64 s[4:5], -1
                                        ; implicit-def: $vgpr1
.LBB20_1292:
	s_and_b64 vcc, exec, s[4:5]
	s_cbranch_vccz .LBB20_1294
; %bb.1293:
	global_load_ubyte v1, v[2:3], off
	s_mov_b32 s4, 0x7f800000
	s_waitcnt vmcnt(0)
	v_lshlrev_b32_e32 v1, 24, v1
	v_and_b32_e32 v4, 0x7f000000, v1
	v_ffbh_u32_e32 v5, v4
	v_min_u32_e32 v5, 32, v5
	v_sub_u32_e64 v5, v5, 4 clamp
	v_lshlrev_b32_e32 v11, v5, v4
	v_lshlrev_b32_e32 v5, 23, v5
	v_lshrrev_b32_e32 v11, 4, v11
	v_add_u32_e32 v6, 0x1000000, v4
	v_sub_u32_e32 v5, v11, v5
	v_ashrrev_i32_e32 v6, 8, v6
	v_add_u32_e32 v5, 0x3c000000, v5
	v_and_or_b32 v5, v6, s4, v5
	v_cmp_ne_u32_e32 vcc, 0, v4
	v_cndmask_b32_e32 v4, 0, v5, vcc
	s_brev_b32 s4, 1
	v_and_or_b32 v1, v1, s4, v4
.LBB20_1294:
	s_mov_b64 s[4:5], 0
.LBB20_1295:
	s_andn2_b64 vcc, exec, s[4:5]
	s_cbranch_vccnz .LBB20_1297
; %bb.1296:
	global_load_ubyte v1, v[2:3], off
	s_movk_i32 s4, 0x7f00
	s_brev_b32 s5, 16
	s_waitcnt vmcnt(0)
	v_lshlrev_b16_e32 v4, 8, v1
	v_lshlrev_b32_e32 v1, 25, v1
	v_lshrrev_b32_e32 v5, 4, v1
	v_and_or_b32 v6, v4, s4, 0.5
	v_or_b32_e32 v5, 0x70000000, v5
	v_add_f32_e32 v6, -0.5, v6
	v_mul_f32_e32 v5, 0x7800000, v5
	v_cmp_gt_u32_e32 vcc, s5, v1
	v_bfe_i32 v4, v4, 0, 16
	v_cndmask_b32_e32 v1, v5, v6, vcc
	s_brev_b32 s4, 1
	v_and_or_b32 v1, v4, s4, v1
.LBB20_1297:
	s_mov_b64 s[4:5], 0
	s_mov_b64 s[6:7], -1
.LBB20_1298:
	s_andn2_b64 vcc, exec, s[4:5]
	s_mov_b64 s[4:5], 0
	s_cbranch_vccnz .LBB20_1309
; %bb.1299:
	v_cmp_lt_i16_e32 vcc, 14, v8
	s_cbranch_vccz .LBB20_1302
; %bb.1300:
	v_cmp_eq_u16_e32 vcc, 15, v8
	s_cbranch_vccz .LBB20_1305
; %bb.1301:
	global_load_ushort v1, v[2:3], off
	s_mov_b64 s[2:3], 0
	s_mov_b64 s[6:7], -1
	s_waitcnt vmcnt(0)
	v_lshlrev_b32_e32 v1, 16, v1
	s_branch .LBB20_1306
.LBB20_1302:
	s_mov_b64 s[14:15], -1
                                        ; implicit-def: $vgpr1
	s_branch .LBB20_1307
.LBB20_1303:
	s_or_saveexec_b64 s[6:7], s[6:7]
	v_mov_b32_e32 v1, s22
	s_xor_b64 exec, exec, s[6:7]
	s_cbranch_execz .LBB20_1284
.LBB20_1304:
	v_cmp_ne_u16_e32 vcc, 0, v4
	s_andn2_b64 s[4:5], s[4:5], exec
	s_and_b64 s[14:15], vcc, exec
	v_mov_b32_e32 v1, 0
	s_or_b64 s[4:5], s[4:5], s[14:15]
	s_or_b64 exec, exec, s[6:7]
	s_and_saveexec_b64 s[6:7], s[4:5]
	s_cbranch_execnz .LBB20_1285
	s_branch .LBB20_1286
.LBB20_1305:
	s_mov_b64 s[2:3], -1
                                        ; implicit-def: $vgpr1
.LBB20_1306:
	s_mov_b64 s[14:15], 0
.LBB20_1307:
	s_and_b64 vcc, exec, s[14:15]
	s_cbranch_vccz .LBB20_1309
; %bb.1308:
	v_cmp_ne_u16_e64 s[2:3], 11, v8
	s_mov_b64 s[4:5], -1
                                        ; implicit-def: $vgpr1
.LBB20_1309:
	s_and_b64 vcc, exec, s[2:3]
	s_cbranch_vccnz .LBB20_1388
; %bb.1310:
	s_andn2_b64 vcc, exec, s[4:5]
	s_cbranch_vccnz .LBB20_1312
.LBB20_1311:
	global_load_ubyte v1, v[2:3], off
	s_mov_b64 s[6:7], -1
	s_waitcnt vmcnt(0)
	v_cmp_ne_u16_e32 vcc, 0, v1
	v_cndmask_b32_e64 v1, 0, 1.0, vcc
.LBB20_1312:
	s_branch .LBB20_1239
.LBB20_1313:
	v_cmp_gt_i16_e32 vcc, 5, v8
	s_cbranch_vccnz .LBB20_1318
; %bb.1314:
	v_cmp_gt_i16_e32 vcc, 8, v8
	s_cbranch_vccnz .LBB20_1319
; %bb.1315:
	;; [unrolled: 3-line block ×3, first 2 shown]
	v_cmp_lt_i16_e32 vcc, 9, v8
	s_cbranch_vccz .LBB20_1321
; %bb.1317:
	global_load_dwordx2 v[4:5], v[2:3], off
	s_mov_b64 s[2:3], 0
	s_waitcnt vmcnt(0)
	v_cvt_f32_f64_e32 v1, v[4:5]
	s_branch .LBB20_1322
.LBB20_1318:
                                        ; implicit-def: $vgpr1
	s_branch .LBB20_1340
.LBB20_1319:
	s_mov_b64 s[2:3], -1
                                        ; implicit-def: $vgpr1
	s_branch .LBB20_1328
.LBB20_1320:
	s_mov_b64 s[2:3], -1
                                        ; implicit-def: $vgpr1
	s_branch .LBB20_1325
.LBB20_1321:
	s_mov_b64 s[2:3], -1
                                        ; implicit-def: $vgpr1
.LBB20_1322:
	s_andn2_b64 vcc, exec, s[2:3]
	s_cbranch_vccnz .LBB20_1324
; %bb.1323:
	global_load_dword v1, v[2:3], off
.LBB20_1324:
	s_mov_b64 s[2:3], 0
.LBB20_1325:
	s_andn2_b64 vcc, exec, s[2:3]
	s_cbranch_vccnz .LBB20_1327
; %bb.1326:
	global_load_dword v1, v[2:3], off
	s_waitcnt vmcnt(0)
	v_cvt_f32_f16_e32 v1, v1
.LBB20_1327:
	s_mov_b64 s[2:3], 0
.LBB20_1328:
	s_andn2_b64 vcc, exec, s[2:3]
	s_cbranch_vccnz .LBB20_1339
; %bb.1329:
	v_cmp_gt_i16_e32 vcc, 6, v8
	s_cbranch_vccnz .LBB20_1332
; %bb.1330:
	v_cmp_lt_i16_e32 vcc, 6, v8
	s_cbranch_vccz .LBB20_1333
; %bb.1331:
	global_load_dwordx2 v[4:5], v[2:3], off
	s_mov_b64 s[2:3], 0
	s_waitcnt vmcnt(0)
	v_cvt_f32_f64_e32 v1, v[4:5]
	s_branch .LBB20_1334
.LBB20_1332:
	s_mov_b64 s[2:3], -1
                                        ; implicit-def: $vgpr1
	s_branch .LBB20_1337
.LBB20_1333:
	s_mov_b64 s[2:3], -1
                                        ; implicit-def: $vgpr1
.LBB20_1334:
	s_andn2_b64 vcc, exec, s[2:3]
	s_cbranch_vccnz .LBB20_1336
; %bb.1335:
	global_load_dword v1, v[2:3], off
.LBB20_1336:
	s_mov_b64 s[2:3], 0
.LBB20_1337:
	s_andn2_b64 vcc, exec, s[2:3]
	s_cbranch_vccnz .LBB20_1339
; %bb.1338:
	global_load_ushort v1, v[2:3], off
	s_waitcnt vmcnt(0)
	v_cvt_f32_f16_e32 v1, v1
.LBB20_1339:
	s_cbranch_execnz .LBB20_1359
.LBB20_1340:
	v_cmp_gt_i16_e32 vcc, 2, v8
	s_cbranch_vccnz .LBB20_1344
; %bb.1341:
	v_cmp_gt_i16_e32 vcc, 3, v8
	s_cbranch_vccnz .LBB20_1345
; %bb.1342:
	v_cmp_lt_i16_e32 vcc, 3, v8
	s_cbranch_vccz .LBB20_1346
; %bb.1343:
	global_load_dwordx2 v[4:5], v[2:3], off
	s_mov_b64 s[2:3], 0
	s_waitcnt vmcnt(0)
	v_xor_b32_e32 v6, v4, v5
	v_ffbh_i32_e32 v1, v5
	v_ashrrev_i32_e32 v6, 31, v6
	v_add_u32_e32 v1, -1, v1
	v_add_u32_e32 v6, 32, v6
	v_min_u32_e32 v1, v1, v6
	v_lshlrev_b64 v[4:5], v1, v[4:5]
	v_min_u32_e32 v4, 1, v4
	v_or_b32_e32 v4, v5, v4
	v_cvt_f32_i32_e32 v4, v4
	v_sub_u32_e32 v1, 32, v1
	v_ldexp_f32 v1, v4, v1
	s_branch .LBB20_1347
.LBB20_1344:
	s_mov_b64 s[2:3], -1
                                        ; implicit-def: $vgpr1
	s_branch .LBB20_1353
.LBB20_1345:
	s_mov_b64 s[2:3], -1
                                        ; implicit-def: $vgpr1
	s_branch .LBB20_1350
.LBB20_1346:
	s_mov_b64 s[2:3], -1
                                        ; implicit-def: $vgpr1
.LBB20_1347:
	s_andn2_b64 vcc, exec, s[2:3]
	s_cbranch_vccnz .LBB20_1349
; %bb.1348:
	global_load_dword v1, v[2:3], off
	s_waitcnt vmcnt(0)
	v_cvt_f32_i32_e32 v1, v1
.LBB20_1349:
	s_mov_b64 s[2:3], 0
.LBB20_1350:
	s_andn2_b64 vcc, exec, s[2:3]
	s_cbranch_vccnz .LBB20_1352
; %bb.1351:
	global_load_sshort v1, v[2:3], off
	s_waitcnt vmcnt(0)
	v_cvt_f32_i32_e32 v1, v1
.LBB20_1352:
	s_mov_b64 s[2:3], 0
.LBB20_1353:
	s_andn2_b64 vcc, exec, s[2:3]
	s_cbranch_vccnz .LBB20_1359
; %bb.1354:
	v_cmp_lt_i16_e32 vcc, 0, v8
	s_cbranch_vccz .LBB20_1356
; %bb.1355:
	global_load_sbyte v1, v[2:3], off
	s_mov_b64 s[2:3], 0
	s_waitcnt vmcnt(0)
	v_cvt_f32_i32_e32 v1, v1
	s_branch .LBB20_1357
.LBB20_1356:
	s_mov_b64 s[2:3], -1
                                        ; implicit-def: $vgpr1
.LBB20_1357:
	s_andn2_b64 vcc, exec, s[2:3]
	s_cbranch_vccnz .LBB20_1359
; %bb.1358:
	global_load_ubyte v1, v[2:3], off
	s_waitcnt vmcnt(0)
	v_cvt_f32_ubyte0_e32 v1, v1
.LBB20_1359:
.LBB20_1360:
	s_waitcnt vmcnt(0)
	v_cmp_gt_f32_e32 vcc, 0, v1
	v_cndmask_b32_e64 v1, v1, -v1, vcc
	s_mov_b32 s2, 0x40a00000
	v_cmp_ge_f32_e32 vcc, s2, v1
	v_mul_f32_e32 v4, v1, v1
                                        ; implicit-def: $vgpr2
	s_and_saveexec_b64 s[2:3], vcc
	s_xor_b64 s[2:3], exec, s[2:3]
	s_cbranch_execz .LBB20_1366
; %bb.1361:
	s_mov_b32 s4, 0x3727c5ac
	v_cmp_ngt_f32_e32 vcc, s4, v1
                                        ; implicit-def: $vgpr2
	s_and_saveexec_b64 s[4:5], vcc
	s_xor_b64 s[4:5], exec, s[4:5]
	s_cbranch_execz .LBB20_1363
; %bb.1362:
	v_mov_b32_e32 v1, 0x43f9c815
	v_fmac_f32_e32 v1, 0, v4
	v_mov_b32_e32 v3, 0x4829b65a
	v_fmac_f32_e32 v3, v4, v1
	;; [unrolled: 2-line block ×4, first 2 shown]
	s_mov_b32 s6, 0xcf8ee29d
	v_mul_f32_e32 v2, 0, v4
	v_mul_f32_e32 v3, v4, v3
	s_mov_b32 s7, 0x53f5f59c
	v_pk_add_f32 v[2:3], v[2:3], s[6:7]
	s_mov_b32 s6, 0x53e3ba8e
	s_mov_b32 s7, 0x578d3514
	v_pk_fma_f32 v[2:3], v[4:5], v[2:3], s[6:7] op_sel_hi:[0,1,1]
	s_mov_b32 s6, 0xd762b0a7
	s_mov_b32 s7, 0x5ae20a0c
	v_pk_fma_f32 v[2:3], v[4:5], v[2:3], s[6:7] op_sel_hi:[0,1,1]
	;; [unrolled: 3-line block ×3, first 2 shown]
	s_mov_b32 s6, 0xc0b90fdc
	s_mov_b32 s7, 0xc1f3c525
	v_pk_add_f32 v[4:5], v[4:5], s[6:7] op_sel_hi:[0,1]
	v_mul_f32_e32 v1, v4, v5
	v_mul_f32_e32 v1, v1, v2
	v_div_scale_f32 v2, s[6:7], v3, v3, v1
	v_rcp_f32_e32 v4, v2
	v_fma_f32 v5, -v2, v4, 1.0
	v_fmac_f32_e32 v4, v5, v4
	v_div_scale_f32 v5, vcc, v1, v3, v1
	v_mul_f32_e32 v6, v5, v4
	v_fma_f32 v11, -v2, v6, v5
	v_fmac_f32_e32 v6, v11, v4
	v_fma_f32 v2, -v2, v6, v5
	v_div_fmas_f32 v2, v2, v4, v6
	v_div_fixup_f32 v2, v2, v3, v1
                                        ; implicit-def: $vgpr4
.LBB20_1363:
	s_andn2_saveexec_b64 s[4:5], s[4:5]
; %bb.1364:
	s_mov_b32 s6, 0xbe800000
	v_fma_f32 v2, v4, s6, 1.0
; %bb.1365:
	s_or_b64 exec, exec, s[4:5]
                                        ; implicit-def: $vgpr4
                                        ; implicit-def: $vgpr1
.LBB20_1366:
	s_andn2_saveexec_b64 s[14:15], s[2:3]
	s_cbranch_execz .LBB20_1376
; %bb.1367:
	v_add_f32_e32 v2, 0xbf490fdb, v1
	v_and_b32_e32 v3, 0x7fffffff, v2
	s_brev_b32 s2, 18
	v_cmp_nlt_f32_e64 s[22:23], |v2|, s2
	v_lshrrev_b32_e32 v13, 23, v3
                                        ; implicit-def: $vgpr5
                                        ; implicit-def: $vgpr6
	s_and_saveexec_b64 s[2:3], s[22:23]
	s_xor_b64 s[24:25], exec, s[2:3]
	s_cbranch_execz .LBB20_1369
; %bb.1368:
	v_add_u32_e32 v5, 0xffffff88, v13
	v_not_b32_e32 v6, 63
	v_cmp_lt_u32_e32 vcc, 63, v5
	v_cndmask_b32_e32 v6, 0, v6, vcc
	v_add_u32_e32 v5, v6, v5
	v_not_b32_e32 v6, 31
	v_cmp_lt_u32_e64 s[2:3], 31, v5
	v_cndmask_b32_e64 v11, 0, v6, s[2:3]
	v_add_u32_e32 v5, v11, v5
	v_cmp_lt_u32_e64 s[4:5], 31, v5
	v_cndmask_b32_e64 v6, 0, v6, s[4:5]
	v_add_u32_e32 v5, v6, v5
	v_and_b32_e32 v6, 0x7fffff, v3
	v_or_b32_e32 v6, 0x800000, v6
	s_mov_b32 s6, 0xfe5163ab
	v_mad_u64_u32 v[16:17], s[6:7], v6, s6, 0
	v_mov_b32_e32 v15, 0
	v_mov_b32_e32 v14, v17
	s_mov_b32 s6, 0x3c439041
	v_mad_u64_u32 v[18:19], s[6:7], v6, s6, v[14:15]
	v_mov_b32_e32 v14, v19
	s_mov_b32 s6, 0xdb629599
	v_mad_u64_u32 v[20:21], s[6:7], v6, s6, v[14:15]
	;; [unrolled: 3-line block ×6, first 2 shown]
	v_cndmask_b32_e32 v11, v26, v22, vcc
	v_cndmask_b32_e32 v6, v14, v24, vcc
	;; [unrolled: 1-line block ×3, first 2 shown]
	v_cndmask_b32_e64 v12, v6, v11, s[2:3]
	v_cndmask_b32_e64 v6, v14, v6, s[2:3]
	v_cndmask_b32_e32 v14, v24, v20, vcc
	v_cndmask_b32_e64 v11, v11, v14, s[2:3]
	v_cndmask_b32_e64 v6, v6, v12, s[4:5]
	v_cndmask_b32_e64 v12, v12, v11, s[4:5]
	v_sub_u32_e32 v15, 32, v5
	v_alignbit_b32 v17, v6, v12, v15
	v_cmp_eq_u32_e64 s[6:7], 0, v5
	v_cndmask_b32_e64 v5, v17, v6, s[6:7]
	v_cndmask_b32_e32 v6, v22, v18, vcc
	v_cndmask_b32_e64 v14, v14, v6, s[2:3]
	v_cndmask_b32_e64 v11, v11, v14, s[4:5]
	v_alignbit_b32 v17, v12, v11, v15
	v_cndmask_b32_e32 v16, v20, v16, vcc
	v_cndmask_b32_e64 v12, v17, v12, s[6:7]
	v_bfe_u32 v19, v5, 29, 1
	v_cndmask_b32_e64 v6, v6, v16, s[2:3]
	v_alignbit_b32 v17, v5, v12, 30
	v_sub_u32_e32 v21, 0, v19
	v_cndmask_b32_e64 v6, v14, v6, s[4:5]
	v_xor_b32_e32 v22, v17, v21
	v_alignbit_b32 v14, v11, v6, v15
	v_cndmask_b32_e64 v11, v14, v11, s[6:7]
	v_ffbh_u32_e32 v14, v22
	v_add_u32_e32 v14, 1, v14
	v_cmp_ne_u32_e32 vcc, v17, v21
	v_alignbit_b32 v12, v12, v11, 30
	v_cndmask_b32_e32 v14, 33, v14, vcc
	v_alignbit_b32 v6, v11, v6, 30
	v_xor_b32_e32 v12, v12, v21
	v_sub_u32_e32 v15, 32, v14
	v_xor_b32_e32 v6, v6, v21
	v_alignbit_b32 v16, v22, v12, v15
	v_alignbit_b32 v6, v12, v6, v15
	;; [unrolled: 1-line block ×3, first 2 shown]
	v_ffbh_u32_e32 v12, v11
	v_min_u32_e32 v12, 32, v12
	v_lshrrev_b32_e32 v18, 29, v5
	v_sub_u32_e32 v15, 31, v12
	v_alignbit_b32 v6, v11, v6, v15
	v_lshlrev_b32_e32 v11, 31, v18
	v_or_b32_e32 v15, 0x33800000, v11
	v_add_lshl_u32 v12, v12, v14, 23
	v_lshrrev_b32_e32 v6, 9, v6
	v_sub_u32_e32 v12, v15, v12
	v_or_b32_e32 v6, v12, v6
	v_alignbit_b32 v12, v14, v16, 9
	v_or_b32_e32 v11, v12, v11
	v_xor_b32_e32 v11, 1.0, v11
	s_mov_b32 s2, 0x3fc90fda
	v_mul_f32_e32 v12, 0x3fc90fda, v11
	v_fma_f32 v14, v11, s2, -v12
	v_fmac_f32_e32 v14, 0x33a22168, v11
	v_fmac_f32_e32 v14, 0x3fc90fda, v6
	v_lshrrev_b32_e32 v5, 30, v5
	v_add_f32_e32 v6, v12, v14
	v_add_u32_e32 v5, v19, v5
	s_andn2_saveexec_b64 s[2:3], s[24:25]
	s_branch .LBB20_1370
.LBB20_1369:
	s_andn2_saveexec_b64 s[2:3], s[24:25]
.LBB20_1370:
	s_mov_b32 s4, 0x3f22f983
	v_mul_f32_e64 v5, |v2|, s4
	v_rndne_f32_e32 v11, v5
	s_mov_b32 s4, 0xbfc90fda
	v_cvt_i32_f32_e32 v5, v11
	v_fma_f32 v6, v11, s4, |v2|
	v_fmac_f32_e32 v6, 0xb3a22168, v11
	v_fmac_f32_e32 v6, 0xa7c234c4, v11
; %bb.1371:
	s_or_b64 exec, exec, s[2:3]
                                        ; implicit-def: $vgpr11
                                        ; implicit-def: $vgpr12
	s_and_saveexec_b64 s[2:3], s[22:23]
	s_xor_b64 s[22:23], exec, s[2:3]
	s_cbranch_execz .LBB20_1373
; %bb.1372:
	v_add_u32_e32 v11, 0xffffff88, v13
	v_not_b32_e32 v12, 63
	v_cmp_lt_u32_e32 vcc, 63, v11
	v_cndmask_b32_e32 v12, 0, v12, vcc
	v_add_u32_e32 v11, v12, v11
	v_not_b32_e32 v12, 31
	v_cmp_lt_u32_e64 s[2:3], 31, v11
	v_cndmask_b32_e64 v14, 0, v12, s[2:3]
	v_add_u32_e32 v11, v14, v11
	v_cmp_lt_u32_e64 s[4:5], 31, v11
	v_cndmask_b32_e64 v12, 0, v12, s[4:5]
	v_add_u32_e32 v11, v12, v11
	v_and_b32_e32 v12, 0x7fffff, v3
	v_or_b32_e32 v26, 0x800000, v12
	s_mov_b32 s6, 0xfe5163ab
	v_mad_u64_u32 v[14:15], s[6:7], v26, s6, 0
	v_mov_b32_e32 v13, 0
	v_mov_b32_e32 v12, v15
	s_mov_b32 s6, 0x3c439041
	v_mad_u64_u32 v[16:17], s[6:7], v26, s6, v[12:13]
	v_mov_b32_e32 v12, v17
	s_mov_b32 s6, 0xdb629599
	v_mad_u64_u32 v[18:19], s[6:7], v26, s6, v[12:13]
	;; [unrolled: 3-line block ×6, first 2 shown]
	v_cndmask_b32_e32 v15, v24, v20, vcc
	v_cndmask_b32_e32 v12, v12, v22, vcc
	;; [unrolled: 1-line block ×3, first 2 shown]
	v_cndmask_b32_e64 v17, v12, v15, s[2:3]
	v_cndmask_b32_e64 v12, v13, v12, s[2:3]
	v_cndmask_b32_e32 v13, v22, v18, vcc
	v_cndmask_b32_e64 v15, v15, v13, s[2:3]
	v_cndmask_b32_e64 v12, v12, v17, s[4:5]
	;; [unrolled: 1-line block ×3, first 2 shown]
	v_sub_u32_e32 v19, 32, v11
	v_alignbit_b32 v21, v12, v17, v19
	v_cmp_eq_u32_e64 s[6:7], 0, v11
	v_cndmask_b32_e64 v11, v21, v12, s[6:7]
	v_cndmask_b32_e32 v12, v20, v16, vcc
	v_cndmask_b32_e64 v13, v13, v12, s[2:3]
	v_cndmask_b32_e64 v15, v15, v13, s[4:5]
	v_alignbit_b32 v16, v17, v15, v19
	v_cndmask_b32_e32 v14, v18, v14, vcc
	v_cndmask_b32_e64 v16, v16, v17, s[6:7]
	v_bfe_u32 v21, v11, 29, 1
	v_cndmask_b32_e64 v12, v12, v14, s[2:3]
	v_alignbit_b32 v17, v11, v16, 30
	v_sub_u32_e32 v22, 0, v21
	v_cndmask_b32_e64 v12, v13, v12, s[4:5]
	v_xor_b32_e32 v23, v17, v22
	v_alignbit_b32 v13, v15, v12, v19
	v_cndmask_b32_e64 v13, v13, v15, s[6:7]
	v_ffbh_u32_e32 v15, v23
	v_add_u32_e32 v15, 1, v15
	v_cmp_ne_u32_e32 vcc, v17, v22
	v_alignbit_b32 v14, v16, v13, 30
	v_cndmask_b32_e32 v15, 33, v15, vcc
	v_alignbit_b32 v12, v13, v12, 30
	v_xor_b32_e32 v14, v14, v22
	v_sub_u32_e32 v16, 32, v15
	v_xor_b32_e32 v12, v12, v22
	v_alignbit_b32 v17, v23, v14, v16
	v_alignbit_b32 v12, v14, v12, v16
	;; [unrolled: 1-line block ×3, first 2 shown]
	v_ffbh_u32_e32 v14, v13
	v_min_u32_e32 v14, 32, v14
	v_lshrrev_b32_e32 v20, 29, v11
	v_sub_u32_e32 v16, 31, v14
	v_alignbit_b32 v12, v13, v12, v16
	v_lshlrev_b32_e32 v13, 31, v20
	v_or_b32_e32 v16, 0x33800000, v13
	v_add_lshl_u32 v14, v14, v15, 23
	v_lshrrev_b32_e32 v12, 9, v12
	v_sub_u32_e32 v14, v16, v14
	v_or_b32_e32 v12, v14, v12
	v_alignbit_b32 v14, v15, v17, 9
	v_or_b32_e32 v13, v14, v13
	v_xor_b32_e32 v13, 1.0, v13
	s_mov_b32 s2, 0x3fc90fda
	v_mul_f32_e32 v14, 0x3fc90fda, v13
	v_fma_f32 v15, v13, s2, -v14
	v_fmac_f32_e32 v15, 0x33a22168, v13
	v_fmac_f32_e32 v15, 0x3fc90fda, v12
	v_lshrrev_b32_e32 v11, 30, v11
	v_add_f32_e32 v12, v14, v15
	v_add_u32_e32 v11, v21, v11
	s_andn2_saveexec_b64 s[2:3], s[22:23]
	s_cbranch_execnz .LBB20_1374
	s_branch .LBB20_1375
.LBB20_1373:
	s_andn2_saveexec_b64 s[2:3], s[22:23]
.LBB20_1374:
	s_mov_b32 s4, 0x3f22f983
	v_mul_f32_e64 v11, |v2|, s4
	v_rndne_f32_e32 v13, v11
	s_mov_b32 s4, 0xbfc90fda
	v_cvt_i32_f32_e32 v11, v13
	v_fma_f32 v12, v13, s4, |v2|
	v_fmac_f32_e32 v12, 0xb3a22168, v13
	v_fmac_f32_e32 v12, 0xa7c234c4, v13
.LBB20_1375:
	s_or_b64 exec, exec, s[2:3]
	s_mov_b32 s4, 0x41c80000
	v_div_scale_f32 v13, s[2:3], v4, v4, s4
	v_rcp_f32_e32 v14, v13
	v_div_scale_f32 v15, vcc, s4, v4, s4
	v_mov_b32_e32 v21, 0xbf000004
	v_fma_f32 v16, -v13, v14, 1.0
	v_fmac_f32_e32 v14, v16, v14
	v_mul_f32_e32 v16, v15, v14
	v_fma_f32 v17, -v13, v16, v15
	v_fmac_f32_e32 v16, v17, v14
	v_fma_f32 v13, -v13, v16, v15
	v_div_fmas_f32 v13, v13, v14, v16
	v_div_fixup_f32 v4, v13, v4, s4
	v_mov_b32_e32 v13, 0x3a50e985
	v_fmac_f32_e32 v13, 0, v4
	v_mov_b32_e32 v14, 0x3da9a586
	v_fmac_f32_e32 v14, v4, v13
	;; [unrolled: 2-line block ×12, first 2 shown]
	v_fma_f32 v13, v4, v15, 1.0
	v_mov_b32_e32 v15, 0xbc3a3a12
	v_fmac_f32_e32 v15, 0, v4
	v_mov_b32_e32 v16, 0xbfa429da
	v_fmac_f32_e32 v16, v4, v15
	;; [unrolled: 2-line block ×9, first 2 shown]
	v_mov_b32_e32 v17, 0x44561b86
	v_fma_f32 v14, v4, v14, 1.0
	v_fmac_f32_e32 v17, v4, v15
	v_mov_b32_e32 v15, 0x4572a66e
	v_div_scale_f32 v18, s[2:3], v13, v13, v14
	v_fmac_f32_e32 v15, v4, v17
	v_mov_b32_e32 v17, 0x45e243be
	v_rcp_f32_e32 v19, v18
	v_fmac_f32_e32 v17, v4, v15
	v_mov_b32_e32 v15, 0x45b955d1
	v_fmac_f32_e32 v15, v4, v17
	v_mov_b32_e32 v17, 0x4500e17e
	;; [unrolled: 2-line block ×3, first 2 shown]
	v_fmac_f32_e32 v15, v4, v17
	v_fma_f32 v4, -v18, v19, 1.0
	v_fmac_f32_e32 v19, v4, v19
	v_div_scale_f32 v4, vcc, v14, v13, v14
	v_mul_f32_e32 v17, v4, v19
	v_fma_f32 v20, -v18, v17, v4
	v_fmac_f32_e32 v17, v20, v19
	v_fma_f32 v4, -v18, v17, v4
	v_div_fmas_f32 v4, v4, v19, v17
	v_div_fixup_f32 v4, v4, v13, v14
	v_mul_f32_e32 v13, v6, v6
	v_mov_b32_e32 v19, 0xbab64f3b
	v_mov_b32_e32 v17, 0x3c0881c4
	v_fmac_f32_e32 v19, 0x37d75334, v13
	v_mov_b32_e32 v20, 0x3d2aabf7
	v_fmac_f32_e32 v17, 0xb94c1982, v13
	v_mov_b32_e32 v18, 0xbe2aaa9d
	v_fma_f32 v19, v13, v19, v20
	v_fma_f32 v17, v13, v17, v18
	;; [unrolled: 1-line block ×3, first 2 shown]
	v_mul_f32_e32 v17, v13, v17
	v_fma_f32 v13, v13, v19, 1.0
	v_and_b32_e32 v19, 1, v5
	v_fmac_f32_e32 v6, v6, v17
	v_cmp_eq_u32_e32 vcc, 0, v19
	v_lshlrev_b32_e32 v5, 30, v5
	v_cndmask_b32_e64 v6, -v6, v13, vcc
	v_and_b32_e32 v5, 0x80000000, v5
	s_mov_b32 s6, 0xc0a00000
	v_xor_b32_e32 v5, v5, v6
	v_div_scale_f32 v6, s[2:3], v1, v1, s6
	v_rcp_f32_e32 v13, v6
	s_movk_i32 s4, 0x1f8
	v_cmp_class_f32_e64 s[2:3], v2, s4
	v_mov_b32_e32 v14, 0x3c0881c4
	v_fma_f32 v22, -v6, v13, 1.0
	v_fmac_f32_e32 v13, v22, v13
	v_div_scale_f32 v22, vcc, s6, v1, s6
	v_mul_f32_e32 v23, v22, v13
	v_fma_f32 v24, -v6, v23, v22
	v_fmac_f32_e32 v23, v24, v13
	v_fma_f32 v6, -v6, v23, v22
	v_div_scale_f32 v22, s[4:5], v15, v15, v16
	v_rcp_f32_e32 v24, v22
	v_div_fmas_f32 v6, v6, v13, v23
	v_div_fixup_f32 v6, v6, v1, s6
	v_mov_b32_e32 v17, 0xbab64f3b
	v_fma_f32 v13, -v22, v24, 1.0
	v_fmac_f32_e32 v24, v13, v24
	v_div_scale_f32 v13, vcc, v16, v15, v16
	v_mul_f32_e32 v23, v13, v24
	v_fma_f32 v25, -v22, v23, v13
	v_fmac_f32_e32 v23, v25, v24
	v_fma_f32 v13, -v22, v23, v13
	v_div_fmas_f32 v13, v13, v24, v23
	v_div_fixup_f32 v13, v13, v15, v16
	v_mul_f32_e32 v6, v6, v13
	v_mul_f32_e32 v13, v12, v12
	v_fmac_f32_e32 v14, 0xb94c1982, v13
	v_fmac_f32_e32 v18, v13, v14
	;; [unrolled: 1-line block ×3, first 2 shown]
	v_mul_f32_e32 v14, v13, v18
	v_fmac_f32_e32 v20, v13, v17
	v_fmac_f32_e32 v12, v12, v14
	;; [unrolled: 1-line block ×3, first 2 shown]
	v_and_b32_e32 v14, 1, v11
	v_lshlrev_b32_e32 v11, 30, v11
	v_fma_f32 v13, v13, v21, 1.0
	v_cmp_eq_u32_e32 vcc, 0, v14
	v_and_b32_e32 v11, 0x80000000, v11
	v_xor_b32_e32 v2, v3, v2
	v_cndmask_b32_e32 v12, v13, v12, vcc
	v_xor_b32_e32 v2, v2, v11
	v_mov_b32_e32 v19, 0x7fc00000
	v_xor_b32_e32 v2, v2, v12
	v_cndmask_b32_e64 v5, v19, v5, s[2:3]
	v_cndmask_b32_e64 v2, v19, v2, s[2:3]
	s_mov_b32 s2, 0xf800000
	v_mul_f32_e32 v3, 0x4f800000, v1
	v_cmp_gt_f32_e32 vcc, s2, v1
	v_cndmask_b32_e32 v1, v1, v3, vcc
	v_sqrt_f32_e32 v3, v1
	v_mul_f32_e32 v2, v6, v2
	v_fmac_f32_e32 v2, v4, v5
	v_mul_f32_e32 v2, 0x3f4c422a, v2
	v_add_u32_e32 v4, -1, v3
	v_fma_f32 v5, -v4, v3, v1
	v_cmp_ge_f32_e64 s[2:3], 0, v5
	v_add_u32_e32 v5, 1, v3
	v_cndmask_b32_e64 v4, v3, v4, s[2:3]
	v_fma_f32 v3, -v5, v3, v1
	v_cmp_lt_f32_e64 s[2:3], 0, v3
	v_cndmask_b32_e64 v3, v4, v5, s[2:3]
	v_mul_f32_e32 v4, 0x37800000, v3
	v_cndmask_b32_e32 v3, v3, v4, vcc
	v_mov_b32_e32 v4, 0x260
	v_cmp_class_f32_e32 vcc, v1, v4
	v_cndmask_b32_e32 v1, v3, v1, vcc
	v_div_scale_f32 v3, s[2:3], v1, v1, v2
	v_rcp_f32_e32 v4, v3
	v_fma_f32 v5, -v3, v4, 1.0
	v_fmac_f32_e32 v4, v5, v4
	v_div_scale_f32 v5, vcc, v2, v1, v2
	v_mul_f32_e32 v6, v5, v4
	v_fma_f32 v11, -v3, v6, v5
	v_fmac_f32_e32 v6, v11, v4
	v_fma_f32 v3, -v3, v6, v5
	v_div_fmas_f32 v3, v3, v4, v6
	v_div_fixup_f32 v2, v3, v1, v2
.LBB20_1376:
	s_or_b64 exec, exec, s[14:15]
	v_add_u32_e32 v1, 0x100, v9
	v_mul_lo_u32 v1, s13, v1
	v_ashrrev_i32_e32 v3, 31, v1
	v_mov_b32_e32 v5, s11
	v_add_co_u32_e32 v4, vcc, s10, v1
	v_addc_co_u32_e32 v5, vcc, v5, v3, vcc
	s_and_b64 vcc, exec, s[0:1]
	s_cbranch_vccnz .LBB20_1383
; %bb.1377:
	v_cmp_lt_i16_e32 vcc, 25, v8
	s_mov_b64 s[4:5], 0
	s_cbranch_vccz .LBB20_1385
; %bb.1378:
	v_cmp_lt_i16_e32 vcc, 28, v8
	s_cbranch_vccz .LBB20_1386
; %bb.1379:
	v_cmp_lt_i16_e32 vcc, 43, v8
	;; [unrolled: 3-line block ×3, first 2 shown]
	s_cbranch_vccz .LBB20_1389
; %bb.1381:
	v_cmp_eq_u16_e32 vcc, 46, v8
	s_mov_b64 s[14:15], 0
	s_cbranch_vccz .LBB20_1390
; %bb.1382:
	global_load_dword v1, v[4:5], off
	s_mov_b64 s[2:3], 0
	s_mov_b64 s[6:7], -1
	s_waitcnt vmcnt(0)
	v_lshlrev_b32_e32 v1, 16, v1
	s_branch .LBB20_1391
.LBB20_1383:
	s_mov_b64 s[6:7], 0
                                        ; implicit-def: $vgpr1
	s_cbranch_execnz .LBB20_1457
.LBB20_1384:
	s_andn2_b64 vcc, exec, s[6:7]
	s_cbranch_vccnz .LBB20_1660
	s_branch .LBB20_1505
.LBB20_1385:
	s_mov_b64 s[14:15], -1
	s_mov_b64 s[6:7], 0
	s_mov_b64 s[2:3], 0
                                        ; implicit-def: $vgpr1
	s_branch .LBB20_1420
.LBB20_1386:
	s_mov_b64 s[14:15], -1
	s_mov_b64 s[6:7], 0
	s_mov_b64 s[2:3], 0
                                        ; implicit-def: $vgpr1
	s_branch .LBB20_1401
.LBB20_1387:
	s_mov_b64 s[14:15], -1
	s_mov_b64 s[6:7], 0
	s_mov_b64 s[2:3], 0
                                        ; implicit-def: $vgpr1
	s_branch .LBB20_1396
.LBB20_1388:
	s_trap 2
	s_or_b64 s[20:21], s[20:21], exec
                                        ; implicit-def: $vgpr1
	s_cbranch_execz .LBB20_1311
	s_branch .LBB20_1312
.LBB20_1389:
	s_mov_b64 s[14:15], -1
	s_mov_b64 s[6:7], 0
	s_mov_b64 s[2:3], 0
                                        ; implicit-def: $vgpr1
	s_branch .LBB20_1391
.LBB20_1390:
	s_mov_b64 s[2:3], -1
                                        ; implicit-def: $vgpr1
	s_mov_b64 s[6:7], 0
.LBB20_1391:
	s_and_b64 vcc, exec, s[14:15]
	s_cbranch_vccz .LBB20_1395
; %bb.1392:
	v_cmp_eq_u16_e32 vcc, 44, v8
	s_cbranch_vccz .LBB20_1394
; %bb.1393:
	global_load_ubyte v1, v[4:5], off
	s_movk_i32 s6, 0xff
	v_mov_b32_e32 v3, 0x7f800001
	v_mov_b32_e32 v6, 0x400000
	s_mov_b64 s[2:3], 0
	s_waitcnt vmcnt(0)
	v_lshlrev_b32_e32 v11, 23, v1
	v_cmp_ne_u32_e32 vcc, s6, v1
	v_cndmask_b32_e32 v3, v3, v11, vcc
	v_cmp_ne_u32_e32 vcc, 0, v1
	v_cndmask_b32_e32 v1, v6, v3, vcc
	s_mov_b64 s[6:7], -1
	s_branch .LBB20_1395
.LBB20_1394:
	s_mov_b64 s[2:3], -1
                                        ; implicit-def: $vgpr1
.LBB20_1395:
	s_mov_b64 s[14:15], 0
.LBB20_1396:
	s_and_b64 vcc, exec, s[14:15]
	s_cbranch_vccz .LBB20_1400
; %bb.1397:
	v_cmp_eq_u16_e32 vcc, 29, v8
	s_cbranch_vccz .LBB20_1399
; %bb.1398:
	global_load_dwordx2 v[12:13], v[4:5], off
	s_mov_b64 s[2:3], 0
	s_mov_b64 s[6:7], -1
	s_mov_b64 s[14:15], 0
	s_waitcnt vmcnt(0)
	v_ffbh_u32_e32 v1, v13
	v_min_u32_e32 v1, 32, v1
	v_lshlrev_b64 v[12:13], v1, v[12:13]
	v_min_u32_e32 v3, 1, v12
	v_or_b32_e32 v3, v13, v3
	v_cvt_f32_u32_e32 v3, v3
	v_sub_u32_e32 v1, 32, v1
	v_ldexp_f32 v1, v3, v1
	s_branch .LBB20_1401
.LBB20_1399:
	s_mov_b64 s[2:3], -1
                                        ; implicit-def: $vgpr1
.LBB20_1400:
	s_mov_b64 s[14:15], 0
.LBB20_1401:
	s_and_b64 vcc, exec, s[14:15]
	s_cbranch_vccz .LBB20_1419
; %bb.1402:
	v_cmp_gt_i16_e32 vcc, 27, v8
	s_cbranch_vccnz .LBB20_1405
; %bb.1403:
	v_cmp_lt_i16_e32 vcc, 27, v8
	s_cbranch_vccz .LBB20_1406
; %bb.1404:
	global_load_dword v1, v[4:5], off
	s_mov_b64 s[6:7], 0
	s_waitcnt vmcnt(0)
	v_cvt_f32_u32_e32 v1, v1
	s_branch .LBB20_1407
.LBB20_1405:
	s_mov_b64 s[6:7], -1
                                        ; implicit-def: $vgpr1
	s_branch .LBB20_1410
.LBB20_1406:
	s_mov_b64 s[6:7], -1
                                        ; implicit-def: $vgpr1
.LBB20_1407:
	s_andn2_b64 vcc, exec, s[6:7]
	s_cbranch_vccnz .LBB20_1409
; %bb.1408:
	global_load_ushort v1, v[4:5], off
	s_waitcnt vmcnt(0)
	v_cvt_f32_u32_e32 v1, v1
.LBB20_1409:
	s_mov_b64 s[6:7], 0
.LBB20_1410:
	s_andn2_b64 vcc, exec, s[6:7]
	s_cbranch_vccnz .LBB20_1418
; %bb.1411:
	global_load_ubyte v3, v[4:5], off
	s_movk_i32 s6, 0x7f
                                        ; implicit-def: $sgpr24
	s_waitcnt vmcnt(0)
	v_cmp_lt_i16_e32 vcc, s6, v3
	s_mov_b64 s[6:7], 0
	s_and_saveexec_b64 s[14:15], vcc
	s_xor_b64 s[14:15], exec, s[14:15]
	s_cbranch_execz .LBB20_1432
; %bb.1412:
	s_movk_i32 s6, 0x80
	v_cmp_eq_u16_e32 vcc, s6, v3
	s_mov_b64 s[6:7], -1
                                        ; implicit-def: $sgpr24
	s_and_saveexec_b64 s[22:23], vcc
; %bb.1413:
	s_mov_b32 s24, 0x7f800001
	s_xor_b64 s[6:7], exec, -1
; %bb.1414:
	s_or_b64 exec, exec, s[22:23]
	s_and_b64 s[6:7], s[6:7], exec
	s_or_saveexec_b64 s[14:15], s[14:15]
	v_mov_b32_e32 v1, s24
	s_xor_b64 exec, exec, s[14:15]
	s_cbranch_execnz .LBB20_1433
.LBB20_1415:
	s_or_b64 exec, exec, s[14:15]
	s_and_saveexec_b64 s[14:15], s[6:7]
	s_cbranch_execz .LBB20_1417
.LBB20_1416:
	v_lshlrev_b32_e32 v1, 24, v3
	v_and_b32_e32 v3, 0xffff, v3
	v_and_b32_e32 v6, 7, v3
	v_ffbh_u32_e32 v12, v6
	v_min_u32_e32 v12, 32, v12
	v_subrev_u32_e32 v13, 28, v12
	v_bfe_u32 v11, v3, 3, 4
	v_lshlrev_b32_e32 v3, v13, v3
	v_sub_u32_e32 v12, 29, v12
	v_and_b32_e32 v3, 7, v3
	v_cmp_eq_u32_e32 vcc, 0, v11
	v_cndmask_b32_e32 v11, v11, v12, vcc
	v_cndmask_b32_e32 v3, v6, v3, vcc
	v_mov_b32_e32 v6, 0x3b800000
	v_lshlrev_b32_e32 v3, 20, v3
	v_and_b32_e32 v1, 0x80000000, v1
	v_lshl_add_u32 v6, v11, 23, v6
	v_or3_b32 v1, v1, v6, v3
.LBB20_1417:
	s_or_b64 exec, exec, s[14:15]
.LBB20_1418:
	s_mov_b64 s[6:7], -1
.LBB20_1419:
	s_mov_b64 s[14:15], 0
.LBB20_1420:
	s_and_b64 vcc, exec, s[14:15]
	s_cbranch_vccz .LBB20_1453
; %bb.1421:
	v_cmp_lt_i16_e32 vcc, 22, v8
	s_cbranch_vccz .LBB20_1431
; %bb.1422:
	v_cmp_gt_i16_e32 vcc, 24, v8
	s_cbranch_vccnz .LBB20_1434
; %bb.1423:
	v_cmp_lt_i16_e32 vcc, 24, v8
	s_cbranch_vccz .LBB20_1435
; %bb.1424:
	global_load_ubyte v3, v[4:5], off
	s_movk_i32 s4, 0x7f
                                        ; implicit-def: $sgpr22
	s_waitcnt vmcnt(0)
	v_cmp_lt_i16_e32 vcc, s4, v3
	s_mov_b64 s[4:5], 0
	s_and_saveexec_b64 s[6:7], vcc
	s_xor_b64 s[6:7], exec, s[6:7]
	s_cbranch_execz .LBB20_1447
; %bb.1425:
	s_movk_i32 s4, 0x80
	v_cmp_eq_u16_e32 vcc, s4, v3
	s_mov_b64 s[4:5], -1
                                        ; implicit-def: $sgpr22
	s_and_saveexec_b64 s[14:15], vcc
; %bb.1426:
	s_mov_b32 s22, 0x7f800001
	s_xor_b64 s[4:5], exec, -1
; %bb.1427:
	s_or_b64 exec, exec, s[14:15]
	s_and_b64 s[4:5], s[4:5], exec
	s_or_saveexec_b64 s[6:7], s[6:7]
	v_mov_b32_e32 v1, s22
	s_xor_b64 exec, exec, s[6:7]
	s_cbranch_execnz .LBB20_1448
.LBB20_1428:
	s_or_b64 exec, exec, s[6:7]
	s_and_saveexec_b64 s[6:7], s[4:5]
	s_cbranch_execz .LBB20_1430
.LBB20_1429:
	v_lshlrev_b32_e32 v1, 24, v3
	v_and_b32_e32 v3, 0xffff, v3
	v_and_b32_e32 v6, 3, v3
	v_ffbh_u32_e32 v12, v6
	v_min_u32_e32 v12, 32, v12
	v_subrev_u32_e32 v13, 29, v12
	v_bfe_u32 v11, v3, 2, 5
	v_lshlrev_b32_e32 v3, v13, v3
	v_sub_u32_e32 v12, 30, v12
	v_and_b32_e32 v3, 3, v3
	v_cmp_eq_u32_e32 vcc, 0, v11
	v_cndmask_b32_e32 v11, v11, v12, vcc
	v_cndmask_b32_e32 v3, v6, v3, vcc
	v_mov_b32_e32 v6, 0x37800000
	v_lshlrev_b32_e32 v3, 21, v3
	v_and_b32_e32 v1, 0x80000000, v1
	v_lshl_add_u32 v6, v11, 23, v6
	v_or3_b32 v1, v1, v6, v3
.LBB20_1430:
	s_or_b64 exec, exec, s[6:7]
	s_mov_b64 s[4:5], 0
	s_branch .LBB20_1436
.LBB20_1431:
	s_mov_b64 s[4:5], -1
                                        ; implicit-def: $vgpr1
	s_branch .LBB20_1442
.LBB20_1432:
	s_or_saveexec_b64 s[14:15], s[14:15]
	v_mov_b32_e32 v1, s24
	s_xor_b64 exec, exec, s[14:15]
	s_cbranch_execz .LBB20_1415
.LBB20_1433:
	v_cmp_ne_u16_e32 vcc, 0, v3
	s_andn2_b64 s[6:7], s[6:7], exec
	s_and_b64 s[22:23], vcc, exec
	v_mov_b32_e32 v1, 0
	s_or_b64 s[6:7], s[6:7], s[22:23]
	s_or_b64 exec, exec, s[14:15]
	s_and_saveexec_b64 s[14:15], s[6:7]
	s_cbranch_execnz .LBB20_1416
	s_branch .LBB20_1417
.LBB20_1434:
	s_mov_b64 s[4:5], -1
                                        ; implicit-def: $vgpr1
	s_branch .LBB20_1439
.LBB20_1435:
	s_mov_b64 s[4:5], -1
                                        ; implicit-def: $vgpr1
.LBB20_1436:
	s_and_b64 vcc, exec, s[4:5]
	s_cbranch_vccz .LBB20_1438
; %bb.1437:
	global_load_ubyte v1, v[4:5], off
	s_mov_b32 s4, 0x7f800000
	s_waitcnt vmcnt(0)
	v_lshlrev_b32_e32 v1, 24, v1
	v_and_b32_e32 v3, 0x7f000000, v1
	v_ffbh_u32_e32 v6, v3
	v_min_u32_e32 v6, 32, v6
	v_sub_u32_e64 v6, v6, 4 clamp
	v_lshlrev_b32_e32 v12, v6, v3
	v_lshlrev_b32_e32 v6, 23, v6
	v_lshrrev_b32_e32 v12, 4, v12
	v_add_u32_e32 v11, 0x1000000, v3
	v_sub_u32_e32 v6, v12, v6
	v_ashrrev_i32_e32 v11, 8, v11
	v_add_u32_e32 v6, 0x3c000000, v6
	v_and_or_b32 v6, v11, s4, v6
	v_cmp_ne_u32_e32 vcc, 0, v3
	v_cndmask_b32_e32 v3, 0, v6, vcc
	s_brev_b32 s4, 1
	v_and_or_b32 v1, v1, s4, v3
.LBB20_1438:
	s_mov_b64 s[4:5], 0
.LBB20_1439:
	s_andn2_b64 vcc, exec, s[4:5]
	s_cbranch_vccnz .LBB20_1441
; %bb.1440:
	global_load_ubyte v1, v[4:5], off
	s_movk_i32 s4, 0x7f00
	s_brev_b32 s5, 16
	s_waitcnt vmcnt(0)
	v_lshlrev_b16_e32 v3, 8, v1
	v_lshlrev_b32_e32 v1, 25, v1
	v_lshrrev_b32_e32 v6, 4, v1
	v_and_or_b32 v11, v3, s4, 0.5
	v_or_b32_e32 v6, 0x70000000, v6
	v_add_f32_e32 v11, -0.5, v11
	v_mul_f32_e32 v6, 0x7800000, v6
	v_cmp_gt_u32_e32 vcc, s5, v1
	v_bfe_i32 v3, v3, 0, 16
	v_cndmask_b32_e32 v1, v6, v11, vcc
	s_brev_b32 s4, 1
	v_and_or_b32 v1, v3, s4, v1
.LBB20_1441:
	s_mov_b64 s[4:5], 0
	s_mov_b64 s[6:7], -1
.LBB20_1442:
	s_andn2_b64 vcc, exec, s[4:5]
	s_mov_b64 s[4:5], 0
	s_cbranch_vccnz .LBB20_1453
; %bb.1443:
	v_cmp_lt_i16_e32 vcc, 14, v8
	s_cbranch_vccz .LBB20_1446
; %bb.1444:
	v_cmp_eq_u16_e32 vcc, 15, v8
	s_cbranch_vccz .LBB20_1449
; %bb.1445:
	global_load_ushort v1, v[4:5], off
	s_mov_b64 s[2:3], 0
	s_mov_b64 s[6:7], -1
	s_waitcnt vmcnt(0)
	v_lshlrev_b32_e32 v1, 16, v1
	s_branch .LBB20_1450
.LBB20_1446:
	s_mov_b64 s[14:15], -1
                                        ; implicit-def: $vgpr1
	s_branch .LBB20_1451
.LBB20_1447:
	s_or_saveexec_b64 s[6:7], s[6:7]
	v_mov_b32_e32 v1, s22
	s_xor_b64 exec, exec, s[6:7]
	s_cbranch_execz .LBB20_1428
.LBB20_1448:
	v_cmp_ne_u16_e32 vcc, 0, v3
	s_andn2_b64 s[4:5], s[4:5], exec
	s_and_b64 s[14:15], vcc, exec
	v_mov_b32_e32 v1, 0
	s_or_b64 s[4:5], s[4:5], s[14:15]
	s_or_b64 exec, exec, s[6:7]
	s_and_saveexec_b64 s[6:7], s[4:5]
	s_cbranch_execnz .LBB20_1429
	s_branch .LBB20_1430
.LBB20_1449:
	s_mov_b64 s[2:3], -1
                                        ; implicit-def: $vgpr1
.LBB20_1450:
	s_mov_b64 s[14:15], 0
.LBB20_1451:
	s_and_b64 vcc, exec, s[14:15]
	s_cbranch_vccz .LBB20_1453
; %bb.1452:
	v_cmp_ne_u16_e64 s[2:3], 11, v8
	s_mov_b64 s[4:5], -1
                                        ; implicit-def: $vgpr1
.LBB20_1453:
	s_and_b64 vcc, exec, s[2:3]
	s_cbranch_vccnz .LBB20_1532
; %bb.1454:
	s_andn2_b64 vcc, exec, s[4:5]
	s_cbranch_vccnz .LBB20_1456
.LBB20_1455:
	global_load_ubyte v1, v[4:5], off
	s_mov_b64 s[6:7], -1
	s_waitcnt vmcnt(0)
	v_cmp_ne_u16_e32 vcc, 0, v1
	v_cndmask_b32_e64 v1, 0, 1.0, vcc
.LBB20_1456:
	s_branch .LBB20_1384
.LBB20_1457:
	v_cmp_gt_i16_e32 vcc, 5, v8
	s_cbranch_vccnz .LBB20_1462
; %bb.1458:
	v_cmp_gt_i16_e32 vcc, 8, v8
	s_cbranch_vccnz .LBB20_1463
; %bb.1459:
	;; [unrolled: 3-line block ×3, first 2 shown]
	v_cmp_lt_i16_e32 vcc, 9, v8
	s_cbranch_vccz .LBB20_1465
; %bb.1461:
	global_load_dwordx2 v[12:13], v[4:5], off
	s_mov_b64 s[2:3], 0
	s_waitcnt vmcnt(0)
	v_cvt_f32_f64_e32 v1, v[12:13]
	s_branch .LBB20_1466
.LBB20_1462:
	s_mov_b64 s[2:3], -1
                                        ; implicit-def: $vgpr1
	s_branch .LBB20_1484
.LBB20_1463:
	s_mov_b64 s[2:3], -1
                                        ; implicit-def: $vgpr1
	s_branch .LBB20_1472
.LBB20_1464:
	s_mov_b64 s[2:3], -1
                                        ; implicit-def: $vgpr1
	s_branch .LBB20_1469
.LBB20_1465:
	s_mov_b64 s[2:3], -1
                                        ; implicit-def: $vgpr1
.LBB20_1466:
	s_andn2_b64 vcc, exec, s[2:3]
	s_cbranch_vccnz .LBB20_1468
; %bb.1467:
	global_load_dword v1, v[4:5], off
.LBB20_1468:
	s_mov_b64 s[2:3], 0
.LBB20_1469:
	s_andn2_b64 vcc, exec, s[2:3]
	s_cbranch_vccnz .LBB20_1471
; %bb.1470:
	global_load_dword v1, v[4:5], off
	s_waitcnt vmcnt(0)
	v_cvt_f32_f16_e32 v1, v1
.LBB20_1471:
	s_mov_b64 s[2:3], 0
.LBB20_1472:
	s_andn2_b64 vcc, exec, s[2:3]
	s_cbranch_vccnz .LBB20_1483
; %bb.1473:
	v_cmp_gt_i16_e32 vcc, 6, v8
	s_cbranch_vccnz .LBB20_1476
; %bb.1474:
	v_cmp_lt_i16_e32 vcc, 6, v8
	s_cbranch_vccz .LBB20_1477
; %bb.1475:
	global_load_dwordx2 v[12:13], v[4:5], off
	s_mov_b64 s[2:3], 0
	s_waitcnt vmcnt(0)
	v_cvt_f32_f64_e32 v1, v[12:13]
	s_branch .LBB20_1478
.LBB20_1476:
	s_mov_b64 s[2:3], -1
                                        ; implicit-def: $vgpr1
	s_branch .LBB20_1481
.LBB20_1477:
	s_mov_b64 s[2:3], -1
                                        ; implicit-def: $vgpr1
.LBB20_1478:
	s_andn2_b64 vcc, exec, s[2:3]
	s_cbranch_vccnz .LBB20_1480
; %bb.1479:
	global_load_dword v1, v[4:5], off
.LBB20_1480:
	s_mov_b64 s[2:3], 0
.LBB20_1481:
	s_andn2_b64 vcc, exec, s[2:3]
	s_cbranch_vccnz .LBB20_1483
; %bb.1482:
	global_load_ushort v1, v[4:5], off
	s_waitcnt vmcnt(0)
	v_cvt_f32_f16_e32 v1, v1
.LBB20_1483:
	s_mov_b64 s[2:3], 0
.LBB20_1484:
	s_andn2_b64 vcc, exec, s[2:3]
	s_cbranch_vccnz .LBB20_1504
; %bb.1485:
	v_cmp_gt_i16_e32 vcc, 2, v8
	s_cbranch_vccnz .LBB20_1489
; %bb.1486:
	v_cmp_gt_i16_e32 vcc, 3, v8
	s_cbranch_vccnz .LBB20_1490
; %bb.1487:
	v_cmp_lt_i16_e32 vcc, 3, v8
	s_cbranch_vccz .LBB20_1491
; %bb.1488:
	global_load_dwordx2 v[12:13], v[4:5], off
	s_mov_b64 s[2:3], 0
	s_waitcnt vmcnt(0)
	v_xor_b32_e32 v3, v12, v13
	v_ffbh_i32_e32 v1, v13
	v_ashrrev_i32_e32 v3, 31, v3
	v_add_u32_e32 v1, -1, v1
	v_add_u32_e32 v3, 32, v3
	v_min_u32_e32 v1, v1, v3
	v_lshlrev_b64 v[12:13], v1, v[12:13]
	v_min_u32_e32 v3, 1, v12
	v_or_b32_e32 v3, v13, v3
	v_cvt_f32_i32_e32 v3, v3
	v_sub_u32_e32 v1, 32, v1
	v_ldexp_f32 v1, v3, v1
	s_branch .LBB20_1492
.LBB20_1489:
	s_mov_b64 s[2:3], -1
                                        ; implicit-def: $vgpr1
	s_branch .LBB20_1498
.LBB20_1490:
	s_mov_b64 s[2:3], -1
                                        ; implicit-def: $vgpr1
	s_branch .LBB20_1495
.LBB20_1491:
	s_mov_b64 s[2:3], -1
                                        ; implicit-def: $vgpr1
.LBB20_1492:
	s_andn2_b64 vcc, exec, s[2:3]
	s_cbranch_vccnz .LBB20_1494
; %bb.1493:
	global_load_dword v1, v[4:5], off
	s_waitcnt vmcnt(0)
	v_cvt_f32_i32_e32 v1, v1
.LBB20_1494:
	s_mov_b64 s[2:3], 0
.LBB20_1495:
	s_andn2_b64 vcc, exec, s[2:3]
	s_cbranch_vccnz .LBB20_1497
; %bb.1496:
	global_load_sshort v1, v[4:5], off
	s_waitcnt vmcnt(0)
	v_cvt_f32_i32_e32 v1, v1
.LBB20_1497:
	s_mov_b64 s[2:3], 0
.LBB20_1498:
	s_andn2_b64 vcc, exec, s[2:3]
	s_cbranch_vccnz .LBB20_1504
; %bb.1499:
	v_cmp_lt_i16_e32 vcc, 0, v8
	s_cbranch_vccz .LBB20_1501
; %bb.1500:
	global_load_sbyte v1, v[4:5], off
	s_mov_b64 s[2:3], 0
	s_waitcnt vmcnt(0)
	v_cvt_f32_i32_e32 v1, v1
	s_branch .LBB20_1502
.LBB20_1501:
	s_mov_b64 s[2:3], -1
                                        ; implicit-def: $vgpr1
.LBB20_1502:
	s_andn2_b64 vcc, exec, s[2:3]
	s_cbranch_vccnz .LBB20_1504
; %bb.1503:
	global_load_ubyte v1, v[4:5], off
	s_waitcnt vmcnt(0)
	v_cvt_f32_ubyte0_e32 v1, v1
.LBB20_1504:
.LBB20_1505:
	s_waitcnt vmcnt(0)
	v_cmp_gt_f32_e32 vcc, 0, v1
	v_cndmask_b32_e64 v1, v1, -v1, vcc
	s_mov_b32 s2, 0x40a00000
	v_cmp_ge_f32_e32 vcc, s2, v1
	v_mul_f32_e32 v6, v1, v1
                                        ; implicit-def: $vgpr4
	s_and_saveexec_b64 s[2:3], vcc
	s_xor_b64 s[2:3], exec, s[2:3]
	s_cbranch_execz .LBB20_1511
; %bb.1506:
	s_mov_b32 s4, 0x3727c5ac
	v_cmp_ngt_f32_e32 vcc, s4, v1
                                        ; implicit-def: $vgpr4
	s_and_saveexec_b64 s[4:5], vcc
	s_xor_b64 s[4:5], exec, s[4:5]
	s_cbranch_execz .LBB20_1508
; %bb.1507:
	v_mov_b32_e32 v1, 0x43f9c815
	v_fmac_f32_e32 v1, 0, v6
	v_mov_b32_e32 v3, 0x4829b65a
	v_fmac_f32_e32 v3, v6, v1
	;; [unrolled: 2-line block ×4, first 2 shown]
	s_mov_b32 s6, 0xcf8ee29d
	v_mul_f32_e32 v4, 0, v6
	v_mul_f32_e32 v5, v6, v3
	s_mov_b32 s7, 0x53f5f59c
	v_pk_add_f32 v[4:5], v[4:5], s[6:7]
	s_mov_b32 s6, 0x53e3ba8e
	s_mov_b32 s7, 0x578d3514
	v_pk_fma_f32 v[4:5], v[6:7], v[4:5], s[6:7] op_sel_hi:[0,1,1]
	s_mov_b32 s6, 0xd762b0a7
	s_mov_b32 s7, 0x5ae20a0c
	v_pk_fma_f32 v[4:5], v[6:7], v[4:5], s[6:7] op_sel_hi:[0,1,1]
	;; [unrolled: 3-line block ×3, first 2 shown]
	s_mov_b32 s6, 0xc0b90fdc
	s_mov_b32 s7, 0xc1f3c525
	v_pk_add_f32 v[12:13], v[6:7], s[6:7] op_sel_hi:[0,1]
	v_mul_f32_e32 v1, v12, v13
	v_mul_f32_e32 v1, v1, v4
	v_div_scale_f32 v3, s[6:7], v5, v5, v1
	v_rcp_f32_e32 v4, v3
	v_fma_f32 v6, -v3, v4, 1.0
	v_fmac_f32_e32 v4, v6, v4
	v_div_scale_f32 v6, vcc, v1, v5, v1
	v_mul_f32_e32 v11, v6, v4
	v_fma_f32 v12, -v3, v11, v6
	v_fmac_f32_e32 v11, v12, v4
	v_fma_f32 v3, -v3, v11, v6
	v_div_fmas_f32 v3, v3, v4, v11
	v_div_fixup_f32 v4, v3, v5, v1
                                        ; implicit-def: $vgpr6
.LBB20_1508:
	s_andn2_saveexec_b64 s[4:5], s[4:5]
; %bb.1509:
	s_mov_b32 s6, 0xbe800000
	v_fma_f32 v4, v6, s6, 1.0
; %bb.1510:
	s_or_b64 exec, exec, s[4:5]
                                        ; implicit-def: $vgpr6
                                        ; implicit-def: $vgpr1
.LBB20_1511:
	s_andn2_saveexec_b64 s[14:15], s[2:3]
	s_cbranch_execz .LBB20_1521
; %bb.1512:
	v_add_f32_e32 v3, 0xbf490fdb, v1
	v_and_b32_e32 v4, 0x7fffffff, v3
	s_brev_b32 s2, 18
	v_cmp_nlt_f32_e64 s[22:23], |v3|, s2
	v_lshrrev_b32_e32 v14, 23, v4
                                        ; implicit-def: $vgpr5
                                        ; implicit-def: $vgpr11
	s_and_saveexec_b64 s[2:3], s[22:23]
	s_xor_b64 s[24:25], exec, s[2:3]
	s_cbranch_execz .LBB20_1514
; %bb.1513:
	v_add_u32_e32 v5, 0xffffff88, v14
	v_not_b32_e32 v11, 63
	v_cmp_lt_u32_e32 vcc, 63, v5
	v_cndmask_b32_e32 v11, 0, v11, vcc
	v_add_u32_e32 v5, v11, v5
	v_not_b32_e32 v11, 31
	v_cmp_lt_u32_e64 s[2:3], 31, v5
	v_cndmask_b32_e64 v12, 0, v11, s[2:3]
	v_add_u32_e32 v5, v12, v5
	v_cmp_lt_u32_e64 s[4:5], 31, v5
	v_cndmask_b32_e64 v11, 0, v11, s[4:5]
	v_add_u32_e32 v5, v11, v5
	v_and_b32_e32 v11, 0x7fffff, v4
	v_or_b32_e32 v11, 0x800000, v11
	s_mov_b32 s6, 0xfe5163ab
	v_mad_u64_u32 v[16:17], s[6:7], v11, s6, 0
	v_mov_b32_e32 v13, 0
	v_mov_b32_e32 v12, v17
	s_mov_b32 s6, 0x3c439041
	v_mad_u64_u32 v[18:19], s[6:7], v11, s6, v[12:13]
	v_mov_b32_e32 v12, v19
	s_mov_b32 s6, 0xdb629599
	v_mad_u64_u32 v[20:21], s[6:7], v11, s6, v[12:13]
	;; [unrolled: 3-line block ×6, first 2 shown]
	v_cndmask_b32_e32 v15, v26, v22, vcc
	v_cndmask_b32_e32 v11, v12, v24, vcc
	;; [unrolled: 1-line block ×3, first 2 shown]
	v_cndmask_b32_e64 v12, v11, v15, s[2:3]
	v_cndmask_b32_e64 v11, v13, v11, s[2:3]
	v_cndmask_b32_e32 v13, v24, v20, vcc
	v_cndmask_b32_e64 v15, v15, v13, s[2:3]
	v_cndmask_b32_e64 v11, v11, v12, s[4:5]
	;; [unrolled: 1-line block ×3, first 2 shown]
	v_sub_u32_e32 v17, 32, v5
	v_alignbit_b32 v19, v11, v12, v17
	v_cmp_eq_u32_e64 s[6:7], 0, v5
	v_cndmask_b32_e64 v5, v19, v11, s[6:7]
	v_cndmask_b32_e32 v11, v22, v18, vcc
	v_cndmask_b32_e64 v13, v13, v11, s[2:3]
	v_cndmask_b32_e64 v15, v15, v13, s[4:5]
	v_alignbit_b32 v18, v12, v15, v17
	v_cndmask_b32_e32 v16, v20, v16, vcc
	v_cndmask_b32_e64 v12, v18, v12, s[6:7]
	v_bfe_u32 v21, v5, 29, 1
	v_cndmask_b32_e64 v11, v11, v16, s[2:3]
	v_alignbit_b32 v18, v5, v12, 30
	v_sub_u32_e32 v22, 0, v21
	v_cndmask_b32_e64 v11, v13, v11, s[4:5]
	v_xor_b32_e32 v23, v18, v22
	v_alignbit_b32 v13, v15, v11, v17
	v_cndmask_b32_e64 v13, v13, v15, s[6:7]
	v_ffbh_u32_e32 v15, v23
	v_add_u32_e32 v15, 1, v15
	v_cmp_ne_u32_e32 vcc, v18, v22
	v_alignbit_b32 v12, v12, v13, 30
	v_cndmask_b32_e32 v15, 33, v15, vcc
	v_alignbit_b32 v11, v13, v11, 30
	v_xor_b32_e32 v12, v12, v22
	v_sub_u32_e32 v16, 32, v15
	v_xor_b32_e32 v11, v11, v22
	v_alignbit_b32 v17, v23, v12, v16
	v_alignbit_b32 v11, v12, v11, v16
	;; [unrolled: 1-line block ×3, first 2 shown]
	v_ffbh_u32_e32 v13, v12
	v_min_u32_e32 v13, 32, v13
	v_lshrrev_b32_e32 v19, 29, v5
	v_sub_u32_e32 v16, 31, v13
	v_alignbit_b32 v11, v12, v11, v16
	v_lshlrev_b32_e32 v12, 31, v19
	v_or_b32_e32 v16, 0x33800000, v12
	v_add_lshl_u32 v13, v13, v15, 23
	v_lshrrev_b32_e32 v11, 9, v11
	v_sub_u32_e32 v13, v16, v13
	v_or_b32_e32 v11, v13, v11
	v_alignbit_b32 v13, v15, v17, 9
	v_or_b32_e32 v12, v13, v12
	v_xor_b32_e32 v12, 1.0, v12
	s_mov_b32 s2, 0x3fc90fda
	v_mul_f32_e32 v13, 0x3fc90fda, v12
	v_fma_f32 v15, v12, s2, -v13
	v_fmac_f32_e32 v15, 0x33a22168, v12
	v_fmac_f32_e32 v15, 0x3fc90fda, v11
	v_lshrrev_b32_e32 v5, 30, v5
	v_add_f32_e32 v11, v13, v15
	v_add_u32_e32 v5, v21, v5
	s_andn2_saveexec_b64 s[2:3], s[24:25]
	s_branch .LBB20_1515
.LBB20_1514:
	s_andn2_saveexec_b64 s[2:3], s[24:25]
.LBB20_1515:
	s_mov_b32 s4, 0x3f22f983
	v_mul_f32_e64 v5, |v3|, s4
	v_rndne_f32_e32 v12, v5
	s_mov_b32 s4, 0xbfc90fda
	v_cvt_i32_f32_e32 v5, v12
	v_fma_f32 v11, v12, s4, |v3|
	v_fmac_f32_e32 v11, 0xb3a22168, v12
	v_fmac_f32_e32 v11, 0xa7c234c4, v12
; %bb.1516:
	s_or_b64 exec, exec, s[2:3]
                                        ; implicit-def: $vgpr12
                                        ; implicit-def: $vgpr13
	s_and_saveexec_b64 s[2:3], s[22:23]
	s_xor_b64 s[22:23], exec, s[2:3]
	s_cbranch_execz .LBB20_1518
; %bb.1517:
	v_add_u32_e32 v12, 0xffffff88, v14
	v_not_b32_e32 v14, 63
	v_cmp_lt_u32_e32 vcc, 63, v12
	v_cndmask_b32_e32 v14, 0, v14, vcc
	v_add_u32_e32 v12, v14, v12
	v_not_b32_e32 v14, 31
	v_cmp_lt_u32_e64 s[2:3], 31, v12
	v_cndmask_b32_e64 v15, 0, v14, s[2:3]
	v_add_u32_e32 v12, v15, v12
	v_cmp_lt_u32_e64 s[4:5], 31, v12
	v_cndmask_b32_e64 v14, 0, v14, s[4:5]
	v_add_u32_e32 v26, v14, v12
	v_and_b32_e32 v12, 0x7fffff, v4
	v_or_b32_e32 v27, 0x800000, v12
	s_mov_b32 s6, 0xfe5163ab
	v_mad_u64_u32 v[14:15], s[6:7], v27, s6, 0
	v_mov_b32_e32 v13, 0
	v_mov_b32_e32 v12, v15
	s_mov_b32 s6, 0x3c439041
	v_mad_u64_u32 v[16:17], s[6:7], v27, s6, v[12:13]
	v_mov_b32_e32 v12, v17
	s_mov_b32 s6, 0xdb629599
	v_mad_u64_u32 v[18:19], s[6:7], v27, s6, v[12:13]
	;; [unrolled: 3-line block ×6, first 2 shown]
	v_cndmask_b32_e32 v15, v24, v20, vcc
	v_cndmask_b32_e32 v12, v12, v22, vcc
	;; [unrolled: 1-line block ×3, first 2 shown]
	v_cndmask_b32_e64 v17, v12, v15, s[2:3]
	v_cndmask_b32_e64 v12, v13, v12, s[2:3]
	v_cndmask_b32_e32 v13, v22, v18, vcc
	v_cndmask_b32_e64 v15, v15, v13, s[2:3]
	v_cndmask_b32_e32 v16, v20, v16, vcc
	v_cndmask_b32_e64 v12, v12, v17, s[4:5]
	v_cndmask_b32_e64 v17, v17, v15, s[4:5]
	v_sub_u32_e32 v19, 32, v26
	v_cndmask_b32_e64 v13, v13, v16, s[2:3]
	v_alignbit_b32 v21, v12, v17, v19
	v_cmp_eq_u32_e64 s[6:7], 0, v26
	v_cndmask_b32_e64 v15, v15, v13, s[4:5]
	v_cndmask_b32_e64 v12, v21, v12, s[6:7]
	v_alignbit_b32 v20, v17, v15, v19
	v_cndmask_b32_e64 v17, v20, v17, s[6:7]
	v_bfe_u32 v22, v12, 29, 1
	v_cndmask_b32_e32 v14, v18, v14, vcc
	v_alignbit_b32 v20, v12, v17, 30
	v_sub_u32_e32 v23, 0, v22
	v_cndmask_b32_e64 v14, v16, v14, s[2:3]
	v_xor_b32_e32 v24, v20, v23
	v_cndmask_b32_e64 v13, v13, v14, s[4:5]
	v_alignbit_b32 v14, v15, v13, v19
	v_ffbh_u32_e32 v16, v24
	v_cndmask_b32_e64 v14, v14, v15, s[6:7]
	v_add_u32_e32 v16, 1, v16
	v_cmp_ne_u32_e32 vcc, v20, v23
	v_alignbit_b32 v15, v17, v14, 30
	v_cndmask_b32_e32 v16, 33, v16, vcc
	v_alignbit_b32 v13, v14, v13, 30
	v_xor_b32_e32 v15, v15, v23
	v_sub_u32_e32 v17, 32, v16
	v_xor_b32_e32 v13, v13, v23
	v_alignbit_b32 v18, v24, v15, v17
	v_alignbit_b32 v13, v15, v13, v17
	;; [unrolled: 1-line block ×3, first 2 shown]
	v_ffbh_u32_e32 v15, v14
	v_min_u32_e32 v15, 32, v15
	v_lshrrev_b32_e32 v21, 29, v12
	v_sub_u32_e32 v17, 31, v15
	v_alignbit_b32 v13, v14, v13, v17
	v_lshlrev_b32_e32 v14, 31, v21
	v_or_b32_e32 v17, 0x33800000, v14
	v_add_lshl_u32 v15, v15, v16, 23
	v_lshrrev_b32_e32 v13, 9, v13
	v_sub_u32_e32 v15, v17, v15
	v_or_b32_e32 v13, v15, v13
	v_alignbit_b32 v15, v16, v18, 9
	v_or_b32_e32 v14, v15, v14
	v_xor_b32_e32 v14, 1.0, v14
	s_mov_b32 s2, 0x3fc90fda
	v_mul_f32_e32 v15, 0x3fc90fda, v14
	v_fma_f32 v16, v14, s2, -v15
	v_fmac_f32_e32 v16, 0x33a22168, v14
	v_fmac_f32_e32 v16, 0x3fc90fda, v13
	v_lshrrev_b32_e32 v12, 30, v12
	v_add_f32_e32 v13, v15, v16
	v_add_u32_e32 v12, v22, v12
	s_andn2_saveexec_b64 s[2:3], s[22:23]
	s_cbranch_execnz .LBB20_1519
	s_branch .LBB20_1520
.LBB20_1518:
	s_andn2_saveexec_b64 s[2:3], s[22:23]
.LBB20_1519:
	s_mov_b32 s4, 0x3f22f983
	v_mul_f32_e64 v12, |v3|, s4
	v_rndne_f32_e32 v14, v12
	s_mov_b32 s4, 0xbfc90fda
	v_cvt_i32_f32_e32 v12, v14
	v_fma_f32 v13, v14, s4, |v3|
	v_fmac_f32_e32 v13, 0xb3a22168, v14
	v_fmac_f32_e32 v13, 0xa7c234c4, v14
.LBB20_1520:
	s_or_b64 exec, exec, s[2:3]
	s_mov_b32 s4, 0x41c80000
	v_div_scale_f32 v14, s[2:3], v6, v6, s4
	v_rcp_f32_e32 v15, v14
	v_div_scale_f32 v16, vcc, s4, v6, s4
	v_mov_b32_e32 v22, 0xbf000004
	v_fma_f32 v17, -v14, v15, 1.0
	v_fmac_f32_e32 v15, v17, v15
	v_mul_f32_e32 v17, v16, v15
	v_fma_f32 v18, -v14, v17, v16
	v_fmac_f32_e32 v17, v18, v15
	v_fma_f32 v14, -v14, v17, v16
	v_div_fmas_f32 v14, v14, v15, v17
	v_div_fixup_f32 v6, v14, v6, s4
	v_mov_b32_e32 v14, 0x3a50e985
	v_fmac_f32_e32 v14, 0, v6
	v_mov_b32_e32 v15, 0x3da9a586
	v_fmac_f32_e32 v15, v6, v14
	;; [unrolled: 2-line block ×12, first 2 shown]
	v_fma_f32 v14, v6, v16, 1.0
	v_mov_b32_e32 v16, 0xbc3a3a12
	v_fmac_f32_e32 v16, 0, v6
	v_mov_b32_e32 v17, 0xbfa429da
	v_fmac_f32_e32 v17, v6, v16
	;; [unrolled: 2-line block ×9, first 2 shown]
	v_mov_b32_e32 v18, 0x44561b86
	v_fma_f32 v15, v6, v15, 1.0
	v_fmac_f32_e32 v18, v6, v16
	v_mov_b32_e32 v16, 0x4572a66e
	v_div_scale_f32 v19, s[2:3], v14, v14, v15
	v_fmac_f32_e32 v16, v6, v18
	v_mov_b32_e32 v18, 0x45e243be
	v_rcp_f32_e32 v20, v19
	v_fmac_f32_e32 v18, v6, v16
	v_mov_b32_e32 v16, 0x45b955d1
	v_fmac_f32_e32 v16, v6, v18
	v_mov_b32_e32 v18, 0x4500e17e
	;; [unrolled: 2-line block ×3, first 2 shown]
	v_fmac_f32_e32 v16, v6, v18
	v_fma_f32 v6, -v19, v20, 1.0
	v_fmac_f32_e32 v20, v6, v20
	v_div_scale_f32 v6, vcc, v15, v14, v15
	v_mul_f32_e32 v18, v6, v20
	v_fma_f32 v21, -v19, v18, v6
	v_fmac_f32_e32 v18, v21, v20
	v_fma_f32 v6, -v19, v18, v6
	v_div_fmas_f32 v6, v6, v20, v18
	v_div_fixup_f32 v6, v6, v14, v15
	v_mul_f32_e32 v14, v11, v11
	v_mov_b32_e32 v20, 0xbab64f3b
	v_mov_b32_e32 v18, 0x3c0881c4
	v_fmac_f32_e32 v20, 0x37d75334, v14
	v_mov_b32_e32 v21, 0x3d2aabf7
	v_fmac_f32_e32 v18, 0xb94c1982, v14
	v_mov_b32_e32 v19, 0xbe2aaa9d
	v_fma_f32 v20, v14, v20, v21
	v_fma_f32 v18, v14, v18, v19
	;; [unrolled: 1-line block ×3, first 2 shown]
	v_mul_f32_e32 v18, v14, v18
	v_fma_f32 v14, v14, v20, 1.0
	v_and_b32_e32 v20, 1, v5
	v_fmac_f32_e32 v11, v11, v18
	v_cmp_eq_u32_e32 vcc, 0, v20
	v_lshlrev_b32_e32 v5, 30, v5
	v_cndmask_b32_e64 v11, -v11, v14, vcc
	v_and_b32_e32 v5, 0x80000000, v5
	s_mov_b32 s6, 0xc0a00000
	v_xor_b32_e32 v5, v5, v11
	v_div_scale_f32 v11, s[2:3], v1, v1, s6
	v_rcp_f32_e32 v14, v11
	s_movk_i32 s4, 0x1f8
	v_cmp_class_f32_e64 s[2:3], v3, s4
	v_mov_b32_e32 v15, 0x3c0881c4
	v_fma_f32 v23, -v11, v14, 1.0
	v_fmac_f32_e32 v14, v23, v14
	v_div_scale_f32 v23, vcc, s6, v1, s6
	v_mul_f32_e32 v24, v23, v14
	v_fma_f32 v25, -v11, v24, v23
	v_fmac_f32_e32 v24, v25, v14
	v_fma_f32 v11, -v11, v24, v23
	v_div_scale_f32 v23, s[4:5], v16, v16, v17
	v_rcp_f32_e32 v25, v23
	v_div_fmas_f32 v11, v11, v14, v24
	v_div_fixup_f32 v11, v11, v1, s6
	v_mov_b32_e32 v18, 0xbab64f3b
	v_fma_f32 v14, -v23, v25, 1.0
	v_fmac_f32_e32 v25, v14, v25
	v_div_scale_f32 v14, vcc, v17, v16, v17
	v_mul_f32_e32 v24, v14, v25
	v_fma_f32 v26, -v23, v24, v14
	v_fmac_f32_e32 v24, v26, v25
	v_fma_f32 v14, -v23, v24, v14
	v_div_fmas_f32 v14, v14, v25, v24
	v_div_fixup_f32 v14, v14, v16, v17
	v_mul_f32_e32 v11, v11, v14
	v_mul_f32_e32 v14, v13, v13
	v_fmac_f32_e32 v15, 0xb94c1982, v14
	v_fmac_f32_e32 v19, v14, v15
	;; [unrolled: 1-line block ×3, first 2 shown]
	v_mul_f32_e32 v15, v14, v19
	v_fmac_f32_e32 v21, v14, v18
	v_fmac_f32_e32 v13, v13, v15
	;; [unrolled: 1-line block ×3, first 2 shown]
	v_and_b32_e32 v15, 1, v12
	v_lshlrev_b32_e32 v12, 30, v12
	v_fma_f32 v14, v14, v22, 1.0
	v_cmp_eq_u32_e32 vcc, 0, v15
	v_and_b32_e32 v12, 0x80000000, v12
	v_xor_b32_e32 v3, v4, v3
	v_cndmask_b32_e32 v13, v14, v13, vcc
	v_xor_b32_e32 v3, v3, v12
	v_mov_b32_e32 v20, 0x7fc00000
	v_xor_b32_e32 v3, v3, v13
	v_cndmask_b32_e64 v5, v20, v5, s[2:3]
	v_cndmask_b32_e64 v3, v20, v3, s[2:3]
	s_mov_b32 s2, 0xf800000
	v_mul_f32_e32 v4, 0x4f800000, v1
	v_cmp_gt_f32_e32 vcc, s2, v1
	v_cndmask_b32_e32 v1, v1, v4, vcc
	v_sqrt_f32_e32 v4, v1
	v_mul_f32_e32 v3, v11, v3
	v_fmac_f32_e32 v3, v6, v5
	v_mul_f32_e32 v3, 0x3f4c422a, v3
	v_add_u32_e32 v5, -1, v4
	v_fma_f32 v6, -v5, v4, v1
	v_cmp_ge_f32_e64 s[2:3], 0, v6
	v_add_u32_e32 v6, 1, v4
	v_cndmask_b32_e64 v5, v4, v5, s[2:3]
	v_fma_f32 v4, -v6, v4, v1
	v_cmp_lt_f32_e64 s[2:3], 0, v4
	v_cndmask_b32_e64 v4, v5, v6, s[2:3]
	v_mul_f32_e32 v5, 0x37800000, v4
	v_cndmask_b32_e32 v4, v4, v5, vcc
	v_mov_b32_e32 v5, 0x260
	v_cmp_class_f32_e32 vcc, v1, v5
	v_cndmask_b32_e32 v1, v4, v1, vcc
	v_div_scale_f32 v4, s[2:3], v1, v1, v3
	v_rcp_f32_e32 v5, v4
	v_fma_f32 v6, -v4, v5, 1.0
	v_fmac_f32_e32 v5, v6, v5
	v_div_scale_f32 v6, vcc, v3, v1, v3
	v_mul_f32_e32 v11, v6, v5
	v_fma_f32 v12, -v4, v11, v6
	v_fmac_f32_e32 v11, v12, v5
	v_fma_f32 v4, -v4, v11, v6
	v_div_fmas_f32 v4, v4, v5, v11
	v_div_fixup_f32 v4, v4, v1, v3
.LBB20_1521:
	s_or_b64 exec, exec, s[14:15]
	v_mul_lo_u32 v1, s13, v7
	v_ashrrev_i32_e32 v3, 31, v1
	v_mov_b32_e32 v5, s11
	v_add_co_u32_e32 v6, vcc, s10, v1
	v_addc_co_u32_e32 v7, vcc, v5, v3, vcc
	s_and_b64 vcc, exec, s[0:1]
	s_cbranch_vccnz .LBB20_1528
; %bb.1522:
	v_cmp_lt_i16_e32 vcc, 25, v8
	s_mov_b64 s[2:3], 0
	s_cbranch_vccz .LBB20_1529
; %bb.1523:
	v_cmp_lt_i16_e32 vcc, 28, v8
	s_cbranch_vccz .LBB20_1530
; %bb.1524:
	v_cmp_lt_i16_e32 vcc, 43, v8
	s_cbranch_vccz .LBB20_1531
; %bb.1525:
	v_cmp_lt_i16_e32 vcc, 45, v8
	s_cbranch_vccz .LBB20_1533
; %bb.1526:
	v_cmp_eq_u16_e32 vcc, 46, v8
	s_mov_b64 s[6:7], 0
	s_cbranch_vccz .LBB20_1534
; %bb.1527:
	global_load_dword v1, v[6:7], off
	s_mov_b64 s[0:1], 0
	s_mov_b64 s[4:5], -1
	s_waitcnt vmcnt(0)
	v_lshlrev_b32_e32 v1, 16, v1
	s_branch .LBB20_1535
.LBB20_1528:
	s_mov_b64 s[0:1], -1
	s_mov_b64 s[4:5], 0
                                        ; implicit-def: $vgpr1
	s_branch .LBB20_1601
.LBB20_1529:
	s_mov_b64 s[6:7], -1
	s_mov_b64 s[4:5], 0
	s_mov_b64 s[0:1], 0
                                        ; implicit-def: $vgpr1
	s_branch .LBB20_1564
.LBB20_1530:
	s_mov_b64 s[6:7], -1
	s_mov_b64 s[4:5], 0
	s_mov_b64 s[0:1], 0
                                        ; implicit-def: $vgpr1
	s_branch .LBB20_1545
.LBB20_1531:
	s_mov_b64 s[6:7], -1
	s_mov_b64 s[4:5], 0
	s_mov_b64 s[0:1], 0
                                        ; implicit-def: $vgpr1
	s_branch .LBB20_1540
.LBB20_1532:
	s_trap 2
	s_or_b64 s[20:21], s[20:21], exec
                                        ; implicit-def: $vgpr1
	s_cbranch_execz .LBB20_1455
	s_branch .LBB20_1456
.LBB20_1533:
	s_mov_b64 s[6:7], -1
	s_mov_b64 s[4:5], 0
	s_mov_b64 s[0:1], 0
                                        ; implicit-def: $vgpr1
	s_branch .LBB20_1535
.LBB20_1534:
	s_mov_b64 s[0:1], -1
                                        ; implicit-def: $vgpr1
	s_mov_b64 s[4:5], 0
.LBB20_1535:
	s_and_b64 vcc, exec, s[6:7]
	s_cbranch_vccz .LBB20_1539
; %bb.1536:
	v_cmp_eq_u16_e32 vcc, 44, v8
	s_cbranch_vccz .LBB20_1538
; %bb.1537:
	global_load_ubyte v1, v[6:7], off
	s_movk_i32 s4, 0xff
	v_mov_b32_e32 v3, 0x7f800001
	v_mov_b32_e32 v5, 0x400000
	s_mov_b64 s[0:1], 0
	s_waitcnt vmcnt(0)
	v_lshlrev_b32_e32 v11, 23, v1
	v_cmp_ne_u32_e32 vcc, s4, v1
	v_cndmask_b32_e32 v3, v3, v11, vcc
	v_cmp_ne_u32_e32 vcc, 0, v1
	v_cndmask_b32_e32 v1, v5, v3, vcc
	s_mov_b64 s[4:5], -1
	s_branch .LBB20_1539
.LBB20_1538:
	s_mov_b64 s[0:1], -1
                                        ; implicit-def: $vgpr1
.LBB20_1539:
	s_mov_b64 s[6:7], 0
.LBB20_1540:
	s_and_b64 vcc, exec, s[6:7]
	s_cbranch_vccz .LBB20_1544
; %bb.1541:
	v_cmp_eq_u16_e32 vcc, 29, v8
	s_cbranch_vccz .LBB20_1543
; %bb.1542:
	global_load_dwordx2 v[12:13], v[6:7], off
	s_mov_b64 s[0:1], 0
	s_mov_b64 s[4:5], -1
	s_mov_b64 s[6:7], 0
	s_waitcnt vmcnt(0)
	v_ffbh_u32_e32 v1, v13
	v_min_u32_e32 v1, 32, v1
	v_lshlrev_b64 v[12:13], v1, v[12:13]
	v_min_u32_e32 v3, 1, v12
	v_or_b32_e32 v3, v13, v3
	v_cvt_f32_u32_e32 v3, v3
	v_sub_u32_e32 v1, 32, v1
	v_ldexp_f32 v1, v3, v1
	s_branch .LBB20_1545
.LBB20_1543:
	s_mov_b64 s[0:1], -1
                                        ; implicit-def: $vgpr1
.LBB20_1544:
	s_mov_b64 s[6:7], 0
.LBB20_1545:
	s_and_b64 vcc, exec, s[6:7]
	s_cbranch_vccz .LBB20_1563
; %bb.1546:
	v_cmp_gt_i16_e32 vcc, 27, v8
	s_cbranch_vccnz .LBB20_1549
; %bb.1547:
	v_cmp_lt_i16_e32 vcc, 27, v8
	s_cbranch_vccz .LBB20_1550
; %bb.1548:
	global_load_dword v1, v[6:7], off
	s_mov_b64 s[4:5], 0
	s_waitcnt vmcnt(0)
	v_cvt_f32_u32_e32 v1, v1
	s_branch .LBB20_1551
.LBB20_1549:
	s_mov_b64 s[4:5], -1
                                        ; implicit-def: $vgpr1
	s_branch .LBB20_1554
.LBB20_1550:
	s_mov_b64 s[4:5], -1
                                        ; implicit-def: $vgpr1
.LBB20_1551:
	s_andn2_b64 vcc, exec, s[4:5]
	s_cbranch_vccnz .LBB20_1553
; %bb.1552:
	global_load_ushort v1, v[6:7], off
	s_waitcnt vmcnt(0)
	v_cvt_f32_u32_e32 v1, v1
.LBB20_1553:
	s_mov_b64 s[4:5], 0
.LBB20_1554:
	s_andn2_b64 vcc, exec, s[4:5]
	s_cbranch_vccnz .LBB20_1562
; %bb.1555:
	global_load_ubyte v3, v[6:7], off
	s_movk_i32 s4, 0x7f
                                        ; implicit-def: $sgpr13
	s_waitcnt vmcnt(0)
	v_cmp_lt_i16_e32 vcc, s4, v3
	s_mov_b64 s[4:5], 0
	s_and_saveexec_b64 s[6:7], vcc
	s_xor_b64 s[6:7], exec, s[6:7]
	s_cbranch_execz .LBB20_1576
; %bb.1556:
	s_movk_i32 s4, 0x80
	v_cmp_eq_u16_e32 vcc, s4, v3
	s_mov_b64 s[4:5], -1
                                        ; implicit-def: $sgpr13
	s_and_saveexec_b64 s[10:11], vcc
; %bb.1557:
	s_mov_b32 s13, 0x7f800001
	s_xor_b64 s[4:5], exec, -1
; %bb.1558:
	s_or_b64 exec, exec, s[10:11]
	s_and_b64 s[4:5], s[4:5], exec
	s_or_saveexec_b64 s[6:7], s[6:7]
	v_mov_b32_e32 v1, s13
	s_xor_b64 exec, exec, s[6:7]
	s_cbranch_execnz .LBB20_1577
.LBB20_1559:
	s_or_b64 exec, exec, s[6:7]
	s_and_saveexec_b64 s[6:7], s[4:5]
	s_cbranch_execz .LBB20_1561
.LBB20_1560:
	v_lshlrev_b32_e32 v1, 24, v3
	v_and_b32_e32 v3, 0xffff, v3
	v_and_b32_e32 v5, 7, v3
	v_ffbh_u32_e32 v12, v5
	v_min_u32_e32 v12, 32, v12
	v_subrev_u32_e32 v13, 28, v12
	v_bfe_u32 v11, v3, 3, 4
	v_lshlrev_b32_e32 v3, v13, v3
	v_sub_u32_e32 v12, 29, v12
	v_and_b32_e32 v3, 7, v3
	v_cmp_eq_u32_e32 vcc, 0, v11
	v_cndmask_b32_e32 v11, v11, v12, vcc
	v_cndmask_b32_e32 v3, v5, v3, vcc
	v_mov_b32_e32 v5, 0x3b800000
	v_lshlrev_b32_e32 v3, 20, v3
	v_and_b32_e32 v1, 0x80000000, v1
	v_lshl_add_u32 v5, v11, 23, v5
	v_or3_b32 v1, v1, v5, v3
.LBB20_1561:
	s_or_b64 exec, exec, s[6:7]
.LBB20_1562:
	s_mov_b64 s[4:5], -1
.LBB20_1563:
	s_mov_b64 s[6:7], 0
.LBB20_1564:
	s_and_b64 vcc, exec, s[6:7]
	s_cbranch_vccz .LBB20_1597
; %bb.1565:
	v_cmp_lt_i16_e32 vcc, 22, v8
	s_cbranch_vccz .LBB20_1575
; %bb.1566:
	v_cmp_gt_i16_e32 vcc, 24, v8
	s_cbranch_vccnz .LBB20_1578
; %bb.1567:
	v_cmp_lt_i16_e32 vcc, 24, v8
	s_cbranch_vccz .LBB20_1579
; %bb.1568:
	global_load_ubyte v3, v[6:7], off
	s_movk_i32 s2, 0x7f
                                        ; implicit-def: $sgpr10
	s_waitcnt vmcnt(0)
	v_cmp_lt_i16_e32 vcc, s2, v3
	s_mov_b64 s[2:3], 0
	s_and_saveexec_b64 s[4:5], vcc
	s_xor_b64 s[4:5], exec, s[4:5]
	s_cbranch_execz .LBB20_1591
; %bb.1569:
	s_movk_i32 s2, 0x80
	v_cmp_eq_u16_e32 vcc, s2, v3
	s_mov_b64 s[2:3], -1
                                        ; implicit-def: $sgpr10
	s_and_saveexec_b64 s[6:7], vcc
; %bb.1570:
	s_mov_b32 s10, 0x7f800001
	s_xor_b64 s[2:3], exec, -1
; %bb.1571:
	s_or_b64 exec, exec, s[6:7]
	s_and_b64 s[2:3], s[2:3], exec
	s_or_saveexec_b64 s[4:5], s[4:5]
	v_mov_b32_e32 v1, s10
	s_xor_b64 exec, exec, s[4:5]
	s_cbranch_execnz .LBB20_1592
.LBB20_1572:
	s_or_b64 exec, exec, s[4:5]
	s_and_saveexec_b64 s[4:5], s[2:3]
	s_cbranch_execz .LBB20_1574
.LBB20_1573:
	v_lshlrev_b32_e32 v1, 24, v3
	v_and_b32_e32 v3, 0xffff, v3
	v_and_b32_e32 v5, 3, v3
	v_ffbh_u32_e32 v12, v5
	v_min_u32_e32 v12, 32, v12
	v_subrev_u32_e32 v13, 29, v12
	v_bfe_u32 v11, v3, 2, 5
	v_lshlrev_b32_e32 v3, v13, v3
	v_sub_u32_e32 v12, 30, v12
	v_and_b32_e32 v3, 3, v3
	v_cmp_eq_u32_e32 vcc, 0, v11
	v_cndmask_b32_e32 v11, v11, v12, vcc
	v_cndmask_b32_e32 v3, v5, v3, vcc
	v_mov_b32_e32 v5, 0x37800000
	v_lshlrev_b32_e32 v3, 21, v3
	v_and_b32_e32 v1, 0x80000000, v1
	v_lshl_add_u32 v5, v11, 23, v5
	v_or3_b32 v1, v1, v5, v3
.LBB20_1574:
	s_or_b64 exec, exec, s[4:5]
	s_mov_b64 s[2:3], 0
	s_branch .LBB20_1580
.LBB20_1575:
	s_mov_b64 s[2:3], -1
                                        ; implicit-def: $vgpr1
	s_branch .LBB20_1586
.LBB20_1576:
	s_or_saveexec_b64 s[6:7], s[6:7]
	v_mov_b32_e32 v1, s13
	s_xor_b64 exec, exec, s[6:7]
	s_cbranch_execz .LBB20_1559
.LBB20_1577:
	v_cmp_ne_u16_e32 vcc, 0, v3
	s_andn2_b64 s[4:5], s[4:5], exec
	s_and_b64 s[10:11], vcc, exec
	v_mov_b32_e32 v1, 0
	s_or_b64 s[4:5], s[4:5], s[10:11]
	s_or_b64 exec, exec, s[6:7]
	s_and_saveexec_b64 s[6:7], s[4:5]
	s_cbranch_execnz .LBB20_1560
	s_branch .LBB20_1561
.LBB20_1578:
	s_mov_b64 s[2:3], -1
                                        ; implicit-def: $vgpr1
	s_branch .LBB20_1583
.LBB20_1579:
	s_mov_b64 s[2:3], -1
                                        ; implicit-def: $vgpr1
.LBB20_1580:
	s_and_b64 vcc, exec, s[2:3]
	s_cbranch_vccz .LBB20_1582
; %bb.1581:
	global_load_ubyte v1, v[6:7], off
	s_mov_b32 s2, 0x7f800000
	s_waitcnt vmcnt(0)
	v_lshlrev_b32_e32 v1, 24, v1
	v_and_b32_e32 v3, 0x7f000000, v1
	v_ffbh_u32_e32 v5, v3
	v_min_u32_e32 v5, 32, v5
	v_sub_u32_e64 v5, v5, 4 clamp
	v_lshlrev_b32_e32 v12, v5, v3
	v_lshlrev_b32_e32 v5, 23, v5
	v_lshrrev_b32_e32 v12, 4, v12
	v_add_u32_e32 v11, 0x1000000, v3
	v_sub_u32_e32 v5, v12, v5
	v_ashrrev_i32_e32 v11, 8, v11
	v_add_u32_e32 v5, 0x3c000000, v5
	v_and_or_b32 v5, v11, s2, v5
	v_cmp_ne_u32_e32 vcc, 0, v3
	v_cndmask_b32_e32 v3, 0, v5, vcc
	s_brev_b32 s2, 1
	v_and_or_b32 v1, v1, s2, v3
.LBB20_1582:
	s_mov_b64 s[2:3], 0
.LBB20_1583:
	s_andn2_b64 vcc, exec, s[2:3]
	s_cbranch_vccnz .LBB20_1585
; %bb.1584:
	global_load_ubyte v1, v[6:7], off
	s_movk_i32 s2, 0x7f00
	s_brev_b32 s3, 16
	s_waitcnt vmcnt(0)
	v_lshlrev_b16_e32 v3, 8, v1
	v_lshlrev_b32_e32 v1, 25, v1
	v_lshrrev_b32_e32 v5, 4, v1
	v_and_or_b32 v11, v3, s2, 0.5
	v_or_b32_e32 v5, 0x70000000, v5
	v_add_f32_e32 v11, -0.5, v11
	v_mul_f32_e32 v5, 0x7800000, v5
	v_cmp_gt_u32_e32 vcc, s3, v1
	v_bfe_i32 v3, v3, 0, 16
	v_cndmask_b32_e32 v1, v5, v11, vcc
	s_brev_b32 s2, 1
	v_and_or_b32 v1, v3, s2, v1
.LBB20_1585:
	s_mov_b64 s[2:3], 0
	s_mov_b64 s[4:5], -1
.LBB20_1586:
	s_andn2_b64 vcc, exec, s[2:3]
	s_mov_b64 s[2:3], 0
	s_cbranch_vccnz .LBB20_1597
; %bb.1587:
	v_cmp_lt_i16_e32 vcc, 14, v8
	s_cbranch_vccz .LBB20_1590
; %bb.1588:
	v_cmp_eq_u16_e32 vcc, 15, v8
	s_cbranch_vccz .LBB20_1593
; %bb.1589:
	global_load_ushort v1, v[6:7], off
	s_mov_b64 s[0:1], 0
	s_mov_b64 s[4:5], -1
	s_waitcnt vmcnt(0)
	v_lshlrev_b32_e32 v1, 16, v1
	s_branch .LBB20_1594
.LBB20_1590:
	s_mov_b64 s[6:7], -1
                                        ; implicit-def: $vgpr1
	s_branch .LBB20_1595
.LBB20_1591:
	s_or_saveexec_b64 s[4:5], s[4:5]
	v_mov_b32_e32 v1, s10
	s_xor_b64 exec, exec, s[4:5]
	s_cbranch_execz .LBB20_1572
.LBB20_1592:
	v_cmp_ne_u16_e32 vcc, 0, v3
	s_andn2_b64 s[2:3], s[2:3], exec
	s_and_b64 s[6:7], vcc, exec
	v_mov_b32_e32 v1, 0
	s_or_b64 s[2:3], s[2:3], s[6:7]
	s_or_b64 exec, exec, s[4:5]
	s_and_saveexec_b64 s[4:5], s[2:3]
	s_cbranch_execnz .LBB20_1573
	s_branch .LBB20_1574
.LBB20_1593:
	s_mov_b64 s[0:1], -1
                                        ; implicit-def: $vgpr1
.LBB20_1594:
	s_mov_b64 s[6:7], 0
.LBB20_1595:
	s_and_b64 vcc, exec, s[6:7]
	s_cbranch_vccz .LBB20_1597
; %bb.1596:
	v_cmp_ne_u16_e64 s[0:1], 11, v8
	s_mov_b64 s[2:3], -1
                                        ; implicit-def: $vgpr1
.LBB20_1597:
	s_and_b64 vcc, exec, s[0:1]
	s_cbranch_vccnz .LBB20_1723
; %bb.1598:
	s_andn2_b64 vcc, exec, s[2:3]
	s_cbranch_vccnz .LBB20_1600
.LBB20_1599:
	global_load_ubyte v1, v[6:7], off
	s_mov_b64 s[4:5], -1
	s_waitcnt vmcnt(0)
	v_cmp_ne_u16_e32 vcc, 0, v1
	v_cndmask_b32_e64 v1, 0, 1.0, vcc
.LBB20_1600:
	s_mov_b64 s[0:1], 0
.LBB20_1601:
	s_and_b64 vcc, exec, s[0:1]
	s_cbranch_vccz .LBB20_1650
; %bb.1602:
	v_cmp_gt_i16_e32 vcc, 5, v8
	s_cbranch_vccnz .LBB20_1607
; %bb.1603:
	v_cmp_gt_i16_e32 vcc, 8, v8
	s_cbranch_vccnz .LBB20_1608
	;; [unrolled: 3-line block ×3, first 2 shown]
; %bb.1605:
	v_cmp_lt_i16_e32 vcc, 9, v8
	s_cbranch_vccz .LBB20_1610
; %bb.1606:
	global_load_dwordx2 v[12:13], v[6:7], off
	s_mov_b64 s[0:1], 0
	s_waitcnt vmcnt(0)
	v_cvt_f32_f64_e32 v1, v[12:13]
	s_branch .LBB20_1611
.LBB20_1607:
	s_mov_b64 s[0:1], -1
                                        ; implicit-def: $vgpr1
	s_branch .LBB20_1629
.LBB20_1608:
	s_mov_b64 s[0:1], -1
                                        ; implicit-def: $vgpr1
	s_branch .LBB20_1617
.LBB20_1609:
	s_mov_b64 s[0:1], -1
                                        ; implicit-def: $vgpr1
	s_branch .LBB20_1614
.LBB20_1610:
	s_mov_b64 s[0:1], -1
                                        ; implicit-def: $vgpr1
.LBB20_1611:
	s_andn2_b64 vcc, exec, s[0:1]
	s_cbranch_vccnz .LBB20_1613
; %bb.1612:
	global_load_dword v1, v[6:7], off
.LBB20_1613:
	s_mov_b64 s[0:1], 0
.LBB20_1614:
	s_andn2_b64 vcc, exec, s[0:1]
	s_cbranch_vccnz .LBB20_1616
; %bb.1615:
	global_load_dword v1, v[6:7], off
	s_waitcnt vmcnt(0)
	v_cvt_f32_f16_e32 v1, v1
.LBB20_1616:
	s_mov_b64 s[0:1], 0
.LBB20_1617:
	s_andn2_b64 vcc, exec, s[0:1]
	s_cbranch_vccnz .LBB20_1628
; %bb.1618:
	v_cmp_gt_i16_e32 vcc, 6, v8
	s_cbranch_vccnz .LBB20_1621
; %bb.1619:
	v_cmp_lt_i16_e32 vcc, 6, v8
	s_cbranch_vccz .LBB20_1622
; %bb.1620:
	global_load_dwordx2 v[12:13], v[6:7], off
	s_mov_b64 s[0:1], 0
	s_waitcnt vmcnt(0)
	v_cvt_f32_f64_e32 v1, v[12:13]
	s_branch .LBB20_1623
.LBB20_1621:
	s_mov_b64 s[0:1], -1
                                        ; implicit-def: $vgpr1
	s_branch .LBB20_1626
.LBB20_1622:
	s_mov_b64 s[0:1], -1
                                        ; implicit-def: $vgpr1
.LBB20_1623:
	s_andn2_b64 vcc, exec, s[0:1]
	s_cbranch_vccnz .LBB20_1625
; %bb.1624:
	global_load_dword v1, v[6:7], off
.LBB20_1625:
	s_mov_b64 s[0:1], 0
.LBB20_1626:
	s_andn2_b64 vcc, exec, s[0:1]
	s_cbranch_vccnz .LBB20_1628
; %bb.1627:
	global_load_ushort v1, v[6:7], off
	s_waitcnt vmcnt(0)
	v_cvt_f32_f16_e32 v1, v1
.LBB20_1628:
	s_mov_b64 s[0:1], 0
.LBB20_1629:
	s_andn2_b64 vcc, exec, s[0:1]
	s_cbranch_vccnz .LBB20_1649
; %bb.1630:
	v_cmp_gt_i16_e32 vcc, 2, v8
	s_cbranch_vccnz .LBB20_1634
; %bb.1631:
	v_cmp_gt_i16_e32 vcc, 3, v8
	s_cbranch_vccnz .LBB20_1635
; %bb.1632:
	v_cmp_lt_i16_e32 vcc, 3, v8
	s_cbranch_vccz .LBB20_1636
; %bb.1633:
	global_load_dwordx2 v[12:13], v[6:7], off
	s_mov_b64 s[0:1], 0
	s_waitcnt vmcnt(0)
	v_xor_b32_e32 v3, v12, v13
	v_ffbh_i32_e32 v1, v13
	v_ashrrev_i32_e32 v3, 31, v3
	v_add_u32_e32 v1, -1, v1
	v_add_u32_e32 v3, 32, v3
	v_min_u32_e32 v1, v1, v3
	v_lshlrev_b64 v[12:13], v1, v[12:13]
	v_min_u32_e32 v3, 1, v12
	v_or_b32_e32 v3, v13, v3
	v_cvt_f32_i32_e32 v3, v3
	v_sub_u32_e32 v1, 32, v1
	v_ldexp_f32 v1, v3, v1
	s_branch .LBB20_1637
.LBB20_1634:
	s_mov_b64 s[0:1], -1
                                        ; implicit-def: $vgpr1
	s_branch .LBB20_1643
.LBB20_1635:
	s_mov_b64 s[0:1], -1
                                        ; implicit-def: $vgpr1
	s_branch .LBB20_1640
.LBB20_1636:
	s_mov_b64 s[0:1], -1
                                        ; implicit-def: $vgpr1
.LBB20_1637:
	s_andn2_b64 vcc, exec, s[0:1]
	s_cbranch_vccnz .LBB20_1639
; %bb.1638:
	global_load_dword v1, v[6:7], off
	s_waitcnt vmcnt(0)
	v_cvt_f32_i32_e32 v1, v1
.LBB20_1639:
	s_mov_b64 s[0:1], 0
.LBB20_1640:
	s_andn2_b64 vcc, exec, s[0:1]
	s_cbranch_vccnz .LBB20_1642
; %bb.1641:
	global_load_sshort v1, v[6:7], off
	s_waitcnt vmcnt(0)
	v_cvt_f32_i32_e32 v1, v1
.LBB20_1642:
	s_mov_b64 s[0:1], 0
.LBB20_1643:
	s_andn2_b64 vcc, exec, s[0:1]
	s_cbranch_vccnz .LBB20_1649
; %bb.1644:
	v_cmp_lt_i16_e32 vcc, 0, v8
	s_cbranch_vccz .LBB20_1646
; %bb.1645:
	global_load_sbyte v1, v[6:7], off
	s_mov_b64 s[0:1], 0
	s_waitcnt vmcnt(0)
	v_cvt_f32_i32_e32 v1, v1
	s_branch .LBB20_1647
.LBB20_1646:
	s_mov_b64 s[0:1], -1
                                        ; implicit-def: $vgpr1
.LBB20_1647:
	s_andn2_b64 vcc, exec, s[0:1]
	s_cbranch_vccnz .LBB20_1649
; %bb.1648:
	global_load_ubyte v1, v[6:7], off
	s_waitcnt vmcnt(0)
	v_cvt_f32_ubyte0_e32 v1, v1
.LBB20_1649:
	s_mov_b64 s[4:5], -1
.LBB20_1650:
	s_andn2_b64 vcc, exec, s[4:5]
	s_cbranch_vccnz .LBB20_1660
; %bb.1651:
	s_waitcnt vmcnt(0)
	v_cmp_gt_f32_e32 vcc, 0, v1
	v_cndmask_b32_e64 v1, v1, -v1, vcc
	s_mov_b32 s0, 0x40a00000
	v_cmp_ge_f32_e32 vcc, s0, v1
	v_mul_f32_e32 v8, v1, v1
                                        ; implicit-def: $vgpr6
	s_and_saveexec_b64 s[0:1], vcc
	s_xor_b64 s[0:1], exec, s[0:1]
	s_cbranch_execz .LBB20_1657
; %bb.1652:
	s_mov_b32 s2, 0x3727c5ac
	v_cmp_ngt_f32_e32 vcc, s2, v1
                                        ; implicit-def: $vgpr6
	s_and_saveexec_b64 s[2:3], vcc
	s_xor_b64 s[2:3], exec, s[2:3]
	s_cbranch_execz .LBB20_1654
; %bb.1653:
	v_mov_b32_e32 v1, 0x43f9c815
	v_fmac_f32_e32 v1, 0, v8
	v_mov_b32_e32 v3, 0x4829b65a
	v_fmac_f32_e32 v3, v8, v1
	;; [unrolled: 2-line block ×4, first 2 shown]
	s_mov_b32 s4, 0xcf8ee29d
	v_mul_f32_e32 v6, 0, v8
	v_mul_f32_e32 v7, v8, v3
	s_mov_b32 s5, 0x53f5f59c
	v_pk_add_f32 v[6:7], v[6:7], s[4:5]
	s_mov_b32 s4, 0x53e3ba8e
	s_mov_b32 s5, 0x578d3514
	v_pk_fma_f32 v[6:7], v[8:9], v[6:7], s[4:5] op_sel_hi:[0,1,1]
	s_mov_b32 s4, 0xd762b0a7
	s_mov_b32 s5, 0x5ae20a0c
	v_pk_fma_f32 v[6:7], v[8:9], v[6:7], s[4:5] op_sel_hi:[0,1,1]
	;; [unrolled: 3-line block ×3, first 2 shown]
	s_mov_b32 s4, 0xc0b90fdc
	s_mov_b32 s5, 0xc1f3c525
	v_pk_add_f32 v[12:13], v[8:9], s[4:5] op_sel_hi:[0,1]
	v_mul_f32_e32 v1, v12, v13
	v_mul_f32_e32 v1, v1, v6
	v_div_scale_f32 v3, s[4:5], v7, v7, v1
	v_rcp_f32_e32 v5, v3
	v_fma_f32 v6, -v3, v5, 1.0
	v_fmac_f32_e32 v5, v6, v5
	v_div_scale_f32 v6, vcc, v1, v7, v1
	v_mul_f32_e32 v8, v6, v5
	v_fma_f32 v11, -v3, v8, v6
	v_fmac_f32_e32 v8, v11, v5
	v_fma_f32 v3, -v3, v8, v6
	v_div_fmas_f32 v3, v3, v5, v8
	v_div_fixup_f32 v6, v3, v7, v1
                                        ; implicit-def: $vgpr8
.LBB20_1654:
	s_andn2_saveexec_b64 s[2:3], s[2:3]
; %bb.1655:
	s_mov_b32 s4, 0xbe800000
	v_fma_f32 v6, v8, s4, 1.0
; %bb.1656:
	s_or_b64 exec, exec, s[2:3]
                                        ; implicit-def: $vgpr8
                                        ; implicit-def: $vgpr1
.LBB20_1657:
	s_andn2_saveexec_b64 s[6:7], s[0:1]
	s_cbranch_execz .LBB20_1713
; %bb.1658:
	v_add_f32_e32 v3, 0xbf490fdb, v1
	v_and_b32_e32 v5, 0x7fffffff, v3
	s_brev_b32 s0, 18
	v_cmp_nlt_f32_e64 s[10:11], |v3|, s0
	v_lshrrev_b32_e32 v13, 23, v5
                                        ; implicit-def: $vgpr6
                                        ; implicit-def: $vgpr7
	s_and_saveexec_b64 s[0:1], s[10:11]
	s_xor_b64 s[14:15], exec, s[0:1]
	s_cbranch_execz .LBB20_1706
; %bb.1659:
	v_add_u32_e32 v6, 0xffffff88, v13
	v_not_b32_e32 v11, 63
	v_cmp_lt_u32_e32 vcc, 63, v6
	v_cndmask_b32_e32 v11, 0, v11, vcc
	v_add_u32_e32 v6, v11, v6
	v_not_b32_e32 v11, 31
	v_cmp_lt_u32_e64 s[0:1], 31, v6
	v_cndmask_b32_e64 v12, 0, v11, s[0:1]
	v_add_u32_e32 v6, v12, v6
	v_cmp_lt_u32_e64 s[2:3], 31, v6
	v_cndmask_b32_e64 v11, 0, v11, s[2:3]
	v_add_u32_e32 v11, v11, v6
	v_and_b32_e32 v6, 0x7fffff, v5
	v_or_b32_e32 v12, 0x800000, v6
	s_mov_b32 s4, 0xfe5163ab
	v_mad_u64_u32 v[14:15], s[4:5], v12, s4, 0
	v_mov_b32_e32 v7, 0
	v_mov_b32_e32 v6, v15
	s_mov_b32 s4, 0x3c439041
	v_mad_u64_u32 v[16:17], s[4:5], v12, s4, v[6:7]
	v_mov_b32_e32 v6, v17
	s_mov_b32 s4, 0xdb629599
	v_mad_u64_u32 v[18:19], s[4:5], v12, s4, v[6:7]
	;; [unrolled: 3-line block ×6, first 2 shown]
	v_cndmask_b32_e32 v15, v24, v20, vcc
	v_cndmask_b32_e32 v6, v6, v22, vcc
	;; [unrolled: 1-line block ×3, first 2 shown]
	v_cndmask_b32_e64 v12, v6, v15, s[0:1]
	v_cndmask_b32_e64 v6, v7, v6, s[0:1]
	v_cndmask_b32_e32 v7, v22, v18, vcc
	v_cndmask_b32_e64 v15, v15, v7, s[0:1]
	v_sub_u32_e32 v17, 32, v11
	v_cmp_eq_u32_e64 s[4:5], 0, v11
	v_cndmask_b32_e32 v11, v20, v16, vcc
	v_cndmask_b32_e64 v6, v6, v12, s[2:3]
	v_cndmask_b32_e64 v12, v12, v15, s[2:3]
	;; [unrolled: 1-line block ×3, first 2 shown]
	v_alignbit_b32 v19, v6, v12, v17
	v_cndmask_b32_e64 v15, v15, v7, s[2:3]
	v_cndmask_b32_e64 v6, v19, v6, s[4:5]
	v_alignbit_b32 v16, v12, v15, v17
	v_cndmask_b32_e64 v12, v16, v12, s[4:5]
	v_bfe_u32 v20, v6, 29, 1
	v_cndmask_b32_e32 v14, v18, v14, vcc
	v_alignbit_b32 v16, v6, v12, 30
	v_sub_u32_e32 v21, 0, v20
	v_cndmask_b32_e64 v11, v11, v14, s[0:1]
	v_xor_b32_e32 v22, v16, v21
	v_cndmask_b32_e64 v7, v7, v11, s[2:3]
	v_alignbit_b32 v11, v15, v7, v17
	v_ffbh_u32_e32 v14, v22
	v_cndmask_b32_e64 v11, v11, v15, s[4:5]
	v_add_u32_e32 v14, 1, v14
	v_cmp_ne_u32_e32 vcc, v16, v21
	v_alignbit_b32 v12, v12, v11, 30
	v_cndmask_b32_e32 v14, 33, v14, vcc
	v_alignbit_b32 v7, v11, v7, 30
	v_xor_b32_e32 v12, v12, v21
	v_sub_u32_e32 v15, 32, v14
	v_xor_b32_e32 v7, v7, v21
	v_alignbit_b32 v16, v22, v12, v15
	v_alignbit_b32 v7, v12, v7, v15
	;; [unrolled: 1-line block ×3, first 2 shown]
	v_ffbh_u32_e32 v12, v11
	v_min_u32_e32 v12, 32, v12
	v_lshrrev_b32_e32 v19, 29, v6
	v_sub_u32_e32 v15, 31, v12
	v_alignbit_b32 v7, v11, v7, v15
	v_lshlrev_b32_e32 v11, 31, v19
	v_or_b32_e32 v15, 0x33800000, v11
	v_add_lshl_u32 v12, v12, v14, 23
	v_lshrrev_b32_e32 v7, 9, v7
	v_sub_u32_e32 v12, v15, v12
	v_or_b32_e32 v7, v12, v7
	v_alignbit_b32 v12, v14, v16, 9
	v_or_b32_e32 v11, v12, v11
	v_xor_b32_e32 v11, 1.0, v11
	s_mov_b32 s0, 0x3fc90fda
	v_mul_f32_e32 v12, 0x3fc90fda, v11
	v_fma_f32 v14, v11, s0, -v12
	v_fmac_f32_e32 v14, 0x33a22168, v11
	v_fmac_f32_e32 v14, 0x3fc90fda, v7
	v_lshrrev_b32_e32 v6, 30, v6
	v_add_f32_e32 v7, v12, v14
	v_add_u32_e32 v6, v20, v6
	s_andn2_saveexec_b64 s[0:1], s[14:15]
	s_branch .LBB20_1707
.LBB20_1660:
	s_mov_b64 s[0:1], 0
                                        ; implicit-def: $vgpr2
                                        ; implicit-def: $vgpr0_vgpr1
                                        ; implicit-def: $vgpr6
.LBB20_1661:
	s_mov_b64 s[2:3], 0
.LBB20_1662:
	s_and_b64 s[14:15], s[2:3], exec
	s_andn2_b64 s[2:3], s[16:17], exec
	s_and_b64 s[4:5], s[20:21], exec
	s_and_b64 s[0:1], s[0:1], exec
	s_or_b64 s[16:17], s[2:3], s[4:5]
.LBB20_1663:
	s_or_b64 exec, exec, s[18:19]
	s_and_saveexec_b64 s[2:3], s[16:17]
	s_cbranch_execz .LBB20_1666
; %bb.1664:
	; divergent unreachable
	s_or_b64 exec, exec, s[2:3]
	s_and_saveexec_b64 s[2:3], s[14:15]
	s_xor_b64 s[2:3], exec, s[2:3]
	s_cbranch_execnz .LBB20_1667
.LBB20_1665:
	s_or_b64 exec, exec, s[2:3]
	s_and_saveexec_b64 s[2:3], s[0:1]
	s_cbranch_execnz .LBB20_1668
	s_branch .LBB20_1705
.LBB20_1666:
	s_or_b64 exec, exec, s[2:3]
	s_and_saveexec_b64 s[2:3], s[14:15]
	s_xor_b64 s[2:3], exec, s[2:3]
	s_cbranch_execz .LBB20_1665
.LBB20_1667:
	v_cmp_neq_f32_e32 vcc, 0, v6
	v_cndmask_b32_e64 v3, 0, 1, vcc
	s_waitcnt vmcnt(0)
	global_store_byte v[0:1], v3, off
	s_or_b64 exec, exec, s[2:3]
	s_and_saveexec_b64 s[2:3], s[0:1]
	s_cbranch_execz .LBB20_1705
.LBB20_1668:
	s_waitcnt vmcnt(0)
	v_cmp_gt_i16_e32 vcc, 5, v2
	s_mov_b64 s[0:1], -1
	s_cbranch_vccnz .LBB20_1689
; %bb.1669:
	v_cmp_gt_i16_e32 vcc, 8, v2
	s_cbranch_vccnz .LBB20_1679
; %bb.1670:
	v_cmp_gt_i16_e32 vcc, 9, v2
	s_cbranch_vccnz .LBB20_1676
; %bb.1671:
	v_cmp_lt_i16_e32 vcc, 9, v2
	s_cbranch_vccz .LBB20_1673
; %bb.1672:
	v_mov_b32_e32 v10, 0
	v_cvt_f64_f32_e32 v[8:9], v6
	v_mov_b32_e32 v11, v10
	global_store_dwordx4 v[0:1], v[8:11], off
	s_mov_b64 s[0:1], 0
.LBB20_1673:
	s_andn2_b64 vcc, exec, s[0:1]
	s_cbranch_vccnz .LBB20_1675
; %bb.1674:
	v_mov_b32_e32 v7, 0
	global_store_dwordx2 v[0:1], v[6:7], off
.LBB20_1675:
	s_mov_b64 s[0:1], 0
.LBB20_1676:
	s_andn2_b64 vcc, exec, s[0:1]
	s_cbranch_vccnz .LBB20_1678
; %bb.1677:
	v_cvt_f16_f32_e32 v3, v6
	global_store_dword v[0:1], v3, off
.LBB20_1678:
	s_mov_b64 s[0:1], 0
.LBB20_1679:
	s_andn2_b64 vcc, exec, s[0:1]
	s_cbranch_vccnz .LBB20_1688
; %bb.1680:
	v_cmp_gt_i16_e32 vcc, 6, v2
	s_mov_b64 s[0:1], -1
	s_cbranch_vccnz .LBB20_1686
; %bb.1681:
	v_cmp_lt_i16_e32 vcc, 6, v2
	s_cbranch_vccz .LBB20_1683
; %bb.1682:
	v_cvt_f64_f32_e32 v[4:5], v6
	global_store_dwordx2 v[0:1], v[4:5], off
	s_mov_b64 s[0:1], 0
.LBB20_1683:
	s_andn2_b64 vcc, exec, s[0:1]
	s_cbranch_vccnz .LBB20_1685
; %bb.1684:
	global_store_dword v[0:1], v6, off
.LBB20_1685:
	s_mov_b64 s[0:1], 0
.LBB20_1686:
	s_andn2_b64 vcc, exec, s[0:1]
	s_cbranch_vccnz .LBB20_1688
; %bb.1687:
	v_cvt_f16_f32_e32 v3, v6
	global_store_short v[0:1], v3, off
.LBB20_1688:
	s_mov_b64 s[0:1], 0
.LBB20_1689:
	s_andn2_b64 vcc, exec, s[0:1]
	s_cbranch_vccnz .LBB20_1705
; %bb.1690:
	v_cmp_gt_i16_e32 vcc, 2, v2
	s_mov_b64 s[0:1], -1
	s_cbranch_vccnz .LBB20_1700
; %bb.1691:
	v_cmp_gt_i16_e32 vcc, 3, v2
	s_cbranch_vccnz .LBB20_1697
; %bb.1692:
	v_cmp_lt_i16_e32 vcc, 3, v2
	s_cbranch_vccz .LBB20_1694
; %bb.1693:
	v_trunc_f32_e32 v3, v6
	s_mov_b32 s0, 0x2f800000
	v_mul_f32_e64 v4, |v3|, s0
	v_floor_f32_e32 v4, v4
	s_mov_b32 s0, 0xcf800000
	v_cvt_u32_f32_e32 v5, v4
	v_fma_f32 v4, v4, s0, |v3|
	v_cvt_u32_f32_e32 v4, v4
	v_ashrrev_i32_e32 v3, 31, v3
	v_xor_b32_e32 v5, v5, v3
	s_mov_b64 s[0:1], 0
	v_xor_b32_e32 v4, v4, v3
	v_sub_co_u32_e32 v4, vcc, v4, v3
	v_subb_co_u32_e32 v5, vcc, v5, v3, vcc
	global_store_dwordx2 v[0:1], v[4:5], off
.LBB20_1694:
	s_andn2_b64 vcc, exec, s[0:1]
	s_cbranch_vccnz .LBB20_1696
; %bb.1695:
	v_cvt_i32_f32_e32 v3, v6
	global_store_dword v[0:1], v3, off
.LBB20_1696:
	s_mov_b64 s[0:1], 0
.LBB20_1697:
	s_andn2_b64 vcc, exec, s[0:1]
	s_cbranch_vccnz .LBB20_1699
; %bb.1698:
	v_cvt_i32_f32_e32 v3, v6
	global_store_short v[0:1], v3, off
.LBB20_1699:
	s_mov_b64 s[0:1], 0
.LBB20_1700:
	s_andn2_b64 vcc, exec, s[0:1]
	s_cbranch_vccnz .LBB20_1705
; %bb.1701:
	v_cmp_lt_i16_e32 vcc, 0, v2
	s_mov_b64 s[0:1], -1
	s_cbranch_vccz .LBB20_1703
; %bb.1702:
	v_cvt_i32_f32_e32 v2, v6
	s_mov_b64 s[0:1], 0
	global_store_byte v[0:1], v2, off
.LBB20_1703:
	s_andn2_b64 vcc, exec, s[0:1]
	s_cbranch_vccnz .LBB20_1705
; %bb.1704:
	v_trunc_f32_e32 v2, v6
	s_mov_b32 s0, 0x2f800000
	v_mul_f32_e64 v3, |v2|, s0
	v_floor_f32_e32 v3, v3
	s_mov_b32 s0, 0xcf800000
	v_fma_f32 v3, v3, s0, |v2|
	v_cvt_u32_f32_e32 v3, v3
	v_ashrrev_i32_e32 v2, 31, v2
	v_xor_b32_e32 v3, v3, v2
	v_sub_u32_e32 v2, v3, v2
	global_store_byte v[0:1], v2, off
	s_endpgm
.LBB20_1705:
	s_endpgm
.LBB20_1706:
	s_andn2_saveexec_b64 s[0:1], s[14:15]
.LBB20_1707:
	s_mov_b32 s2, 0x3f22f983
	v_mul_f32_e64 v6, |v3|, s2
	v_rndne_f32_e32 v11, v6
	s_mov_b32 s2, 0xbfc90fda
	v_cvt_i32_f32_e32 v6, v11
	v_fma_f32 v7, v11, s2, |v3|
	v_fmac_f32_e32 v7, 0xb3a22168, v11
	v_fmac_f32_e32 v7, 0xa7c234c4, v11
; %bb.1708:
	s_or_b64 exec, exec, s[0:1]
                                        ; implicit-def: $vgpr11
                                        ; implicit-def: $vgpr12
	s_and_saveexec_b64 s[0:1], s[10:11]
	s_xor_b64 s[10:11], exec, s[0:1]
	s_cbranch_execz .LBB20_1710
; %bb.1709:
	v_add_u32_e32 v11, 0xffffff88, v13
	v_not_b32_e32 v12, 63
	v_cmp_lt_u32_e32 vcc, 63, v11
	v_cndmask_b32_e32 v12, 0, v12, vcc
	v_add_u32_e32 v11, v12, v11
	v_not_b32_e32 v12, 31
	v_cmp_lt_u32_e64 s[0:1], 31, v11
	v_cndmask_b32_e64 v14, 0, v12, s[0:1]
	v_add_u32_e32 v11, v14, v11
	v_cmp_lt_u32_e64 s[2:3], 31, v11
	v_cndmask_b32_e64 v12, 0, v12, s[2:3]
	v_add_u32_e32 v11, v12, v11
	v_and_b32_e32 v12, 0x7fffff, v5
	v_or_b32_e32 v26, 0x800000, v12
	s_mov_b32 s4, 0xfe5163ab
	v_mad_u64_u32 v[14:15], s[4:5], v26, s4, 0
	v_mov_b32_e32 v13, 0
	v_mov_b32_e32 v12, v15
	s_mov_b32 s4, 0x3c439041
	v_mad_u64_u32 v[16:17], s[4:5], v26, s4, v[12:13]
	v_mov_b32_e32 v12, v17
	s_mov_b32 s4, 0xdb629599
	v_mad_u64_u32 v[18:19], s[4:5], v26, s4, v[12:13]
	;; [unrolled: 3-line block ×6, first 2 shown]
	v_cndmask_b32_e32 v15, v24, v20, vcc
	v_cndmask_b32_e32 v12, v12, v22, vcc
	;; [unrolled: 1-line block ×3, first 2 shown]
	v_cndmask_b32_e64 v17, v12, v15, s[0:1]
	v_cndmask_b32_e64 v12, v13, v12, s[0:1]
	v_cndmask_b32_e32 v13, v22, v18, vcc
	v_cndmask_b32_e64 v15, v15, v13, s[0:1]
	v_cndmask_b32_e64 v12, v12, v17, s[2:3]
	;; [unrolled: 1-line block ×3, first 2 shown]
	v_sub_u32_e32 v19, 32, v11
	v_alignbit_b32 v21, v12, v17, v19
	v_cmp_eq_u32_e64 s[4:5], 0, v11
	v_cndmask_b32_e64 v11, v21, v12, s[4:5]
	v_cndmask_b32_e32 v12, v20, v16, vcc
	v_cndmask_b32_e64 v13, v13, v12, s[0:1]
	v_cndmask_b32_e64 v15, v15, v13, s[2:3]
	v_alignbit_b32 v16, v17, v15, v19
	v_cndmask_b32_e32 v14, v18, v14, vcc
	v_cndmask_b32_e64 v16, v16, v17, s[4:5]
	v_bfe_u32 v21, v11, 29, 1
	v_cndmask_b32_e64 v12, v12, v14, s[0:1]
	v_alignbit_b32 v17, v11, v16, 30
	v_sub_u32_e32 v22, 0, v21
	v_cndmask_b32_e64 v12, v13, v12, s[2:3]
	v_xor_b32_e32 v23, v17, v22
	v_alignbit_b32 v13, v15, v12, v19
	v_cndmask_b32_e64 v13, v13, v15, s[4:5]
	v_ffbh_u32_e32 v15, v23
	v_add_u32_e32 v15, 1, v15
	v_cmp_ne_u32_e32 vcc, v17, v22
	v_alignbit_b32 v14, v16, v13, 30
	v_cndmask_b32_e32 v15, 33, v15, vcc
	v_alignbit_b32 v12, v13, v12, 30
	v_xor_b32_e32 v14, v14, v22
	v_sub_u32_e32 v16, 32, v15
	v_xor_b32_e32 v12, v12, v22
	v_alignbit_b32 v17, v23, v14, v16
	v_alignbit_b32 v12, v14, v12, v16
	;; [unrolled: 1-line block ×3, first 2 shown]
	v_ffbh_u32_e32 v14, v13
	v_min_u32_e32 v14, 32, v14
	v_lshrrev_b32_e32 v20, 29, v11
	v_sub_u32_e32 v16, 31, v14
	v_alignbit_b32 v12, v13, v12, v16
	v_lshlrev_b32_e32 v13, 31, v20
	v_or_b32_e32 v16, 0x33800000, v13
	v_add_lshl_u32 v14, v14, v15, 23
	v_lshrrev_b32_e32 v12, 9, v12
	v_sub_u32_e32 v14, v16, v14
	v_or_b32_e32 v12, v14, v12
	v_alignbit_b32 v14, v15, v17, 9
	v_or_b32_e32 v13, v14, v13
	v_xor_b32_e32 v13, 1.0, v13
	s_mov_b32 s0, 0x3fc90fda
	v_mul_f32_e32 v14, 0x3fc90fda, v13
	v_fma_f32 v15, v13, s0, -v14
	v_fmac_f32_e32 v15, 0x33a22168, v13
	v_fmac_f32_e32 v15, 0x3fc90fda, v12
	v_lshrrev_b32_e32 v11, 30, v11
	v_add_f32_e32 v12, v14, v15
	v_add_u32_e32 v11, v21, v11
	s_andn2_saveexec_b64 s[0:1], s[10:11]
	s_cbranch_execnz .LBB20_1711
	s_branch .LBB20_1712
.LBB20_1710:
	s_andn2_saveexec_b64 s[0:1], s[10:11]
.LBB20_1711:
	s_mov_b32 s2, 0x3f22f983
	v_mul_f32_e64 v11, |v3|, s2
	v_rndne_f32_e32 v13, v11
	s_mov_b32 s2, 0xbfc90fda
	v_cvt_i32_f32_e32 v11, v13
	v_fma_f32 v12, v13, s2, |v3|
	v_fmac_f32_e32 v12, 0xb3a22168, v13
	v_fmac_f32_e32 v12, 0xa7c234c4, v13
.LBB20_1712:
	s_or_b64 exec, exec, s[0:1]
	s_mov_b32 s2, 0x41c80000
	v_div_scale_f32 v13, s[0:1], v8, v8, s2
	v_rcp_f32_e32 v14, v13
	v_div_scale_f32 v15, vcc, s2, v8, s2
	v_mov_b32_e32 v21, 0xbf000004
	v_fma_f32 v16, -v13, v14, 1.0
	v_fmac_f32_e32 v14, v16, v14
	v_mul_f32_e32 v16, v15, v14
	v_fma_f32 v17, -v13, v16, v15
	v_fmac_f32_e32 v16, v17, v14
	v_fma_f32 v13, -v13, v16, v15
	v_div_fmas_f32 v13, v13, v14, v16
	v_div_fixup_f32 v8, v13, v8, s2
	v_mov_b32_e32 v13, 0x3a50e985
	v_fmac_f32_e32 v13, 0, v8
	v_mov_b32_e32 v14, 0x3da9a586
	v_fmac_f32_e32 v14, v8, v13
	;; [unrolled: 2-line block ×12, first 2 shown]
	v_fma_f32 v13, v8, v15, 1.0
	v_mov_b32_e32 v15, 0xbc3a3a12
	v_fmac_f32_e32 v15, 0, v8
	v_mov_b32_e32 v16, 0xbfa429da
	v_fmac_f32_e32 v16, v8, v15
	v_mov_b32_e32 v15, 0xc19c6e80
	v_fmac_f32_e32 v15, v8, v16
	v_mov_b32_e32 v16, 0xc2ba697b
	v_fmac_f32_e32 v16, v8, v15
	v_mov_b32_e32 v15, 0xc331ae61
	v_fmac_f32_e32 v15, v8, v16
	v_mov_b32_e32 v16, 0xc31313d7
	v_fmac_f32_e32 v16, v8, v15
	v_mov_b32_e32 v15, 0xc24da463
	v_fmac_f32_e32 v15, v8, v16
	v_mov_b32_e32 v16, 0xc0c19ac7
	v_fmac_f32_e32 v16, v8, v15
	v_mov_b32_e32 v15, 0x4280a2ba
	v_fmac_f32_e32 v15, 0, v8
	v_mov_b32_e32 v17, 0x44561b86
	v_fma_f32 v14, v8, v14, 1.0
	v_fmac_f32_e32 v17, v8, v15
	v_mov_b32_e32 v15, 0x4572a66e
	v_div_scale_f32 v18, s[0:1], v13, v13, v14
	v_fmac_f32_e32 v15, v8, v17
	v_mov_b32_e32 v17, 0x45e243be
	v_rcp_f32_e32 v19, v18
	v_fmac_f32_e32 v17, v8, v15
	v_mov_b32_e32 v15, 0x45b955d1
	v_fmac_f32_e32 v15, v8, v17
	v_mov_b32_e32 v17, 0x4500e17e
	;; [unrolled: 2-line block ×3, first 2 shown]
	v_fmac_f32_e32 v15, v8, v17
	v_fma_f32 v8, -v18, v19, 1.0
	v_fmac_f32_e32 v19, v8, v19
	v_div_scale_f32 v8, vcc, v14, v13, v14
	v_mul_f32_e32 v17, v8, v19
	v_fma_f32 v20, -v18, v17, v8
	v_fmac_f32_e32 v17, v20, v19
	v_fma_f32 v8, -v18, v17, v8
	v_div_fmas_f32 v8, v8, v19, v17
	v_div_fixup_f32 v8, v8, v13, v14
	v_mul_f32_e32 v13, v7, v7
	v_mov_b32_e32 v19, 0xbab64f3b
	v_mov_b32_e32 v17, 0x3c0881c4
	v_fmac_f32_e32 v19, 0x37d75334, v13
	v_mov_b32_e32 v20, 0x3d2aabf7
	v_fmac_f32_e32 v17, 0xb94c1982, v13
	v_mov_b32_e32 v18, 0xbe2aaa9d
	v_fma_f32 v19, v13, v19, v20
	v_fma_f32 v17, v13, v17, v18
	;; [unrolled: 1-line block ×3, first 2 shown]
	v_mul_f32_e32 v17, v13, v17
	v_fma_f32 v13, v13, v19, 1.0
	v_and_b32_e32 v19, 1, v6
	v_fmac_f32_e32 v7, v7, v17
	v_cmp_eq_u32_e32 vcc, 0, v19
	v_lshlrev_b32_e32 v6, 30, v6
	v_cndmask_b32_e64 v7, -v7, v13, vcc
	v_and_b32_e32 v6, 0x80000000, v6
	s_mov_b32 s4, 0xc0a00000
	v_xor_b32_e32 v6, v6, v7
	v_div_scale_f32 v7, s[0:1], v1, v1, s4
	v_rcp_f32_e32 v13, v7
	s_movk_i32 s2, 0x1f8
	v_cmp_class_f32_e64 s[0:1], v3, s2
	v_mov_b32_e32 v14, 0x3c0881c4
	v_fma_f32 v22, -v7, v13, 1.0
	v_fmac_f32_e32 v13, v22, v13
	v_div_scale_f32 v22, vcc, s4, v1, s4
	v_mul_f32_e32 v23, v22, v13
	v_fma_f32 v24, -v7, v23, v22
	v_fmac_f32_e32 v23, v24, v13
	v_fma_f32 v7, -v7, v23, v22
	v_div_scale_f32 v22, s[2:3], v15, v15, v16
	v_rcp_f32_e32 v24, v22
	v_div_fmas_f32 v7, v7, v13, v23
	v_div_fixup_f32 v7, v7, v1, s4
	v_mov_b32_e32 v17, 0xbab64f3b
	v_fma_f32 v13, -v22, v24, 1.0
	v_fmac_f32_e32 v24, v13, v24
	v_div_scale_f32 v13, vcc, v16, v15, v16
	v_mul_f32_e32 v23, v13, v24
	v_fma_f32 v25, -v22, v23, v13
	v_fmac_f32_e32 v23, v25, v24
	v_fma_f32 v13, -v22, v23, v13
	v_div_fmas_f32 v13, v13, v24, v23
	v_div_fixup_f32 v13, v13, v15, v16
	v_mul_f32_e32 v7, v7, v13
	v_mul_f32_e32 v13, v12, v12
	v_fmac_f32_e32 v14, 0xb94c1982, v13
	v_fmac_f32_e32 v18, v13, v14
	;; [unrolled: 1-line block ×3, first 2 shown]
	v_mul_f32_e32 v14, v13, v18
	v_fmac_f32_e32 v20, v13, v17
	v_fmac_f32_e32 v12, v12, v14
	;; [unrolled: 1-line block ×3, first 2 shown]
	v_and_b32_e32 v14, 1, v11
	v_lshlrev_b32_e32 v11, 30, v11
	v_fma_f32 v13, v13, v21, 1.0
	v_cmp_eq_u32_e32 vcc, 0, v14
	v_and_b32_e32 v11, 0x80000000, v11
	v_xor_b32_e32 v3, v5, v3
	v_cndmask_b32_e32 v12, v13, v12, vcc
	v_xor_b32_e32 v3, v3, v11
	v_mov_b32_e32 v19, 0x7fc00000
	v_xor_b32_e32 v3, v3, v12
	v_cndmask_b32_e64 v6, v19, v6, s[0:1]
	v_cndmask_b32_e64 v3, v19, v3, s[0:1]
	s_mov_b32 s0, 0xf800000
	v_mul_f32_e32 v5, 0x4f800000, v1
	v_cmp_gt_f32_e32 vcc, s0, v1
	v_cndmask_b32_e32 v1, v1, v5, vcc
	v_sqrt_f32_e32 v5, v1
	v_mul_f32_e32 v3, v7, v3
	v_fmac_f32_e32 v3, v8, v6
	v_mul_f32_e32 v3, 0x3f4c422a, v3
	v_add_u32_e32 v6, -1, v5
	v_fma_f32 v7, -v6, v5, v1
	v_cmp_ge_f32_e64 s[0:1], 0, v7
	v_add_u32_e32 v7, 1, v5
	v_cndmask_b32_e64 v6, v5, v6, s[0:1]
	v_fma_f32 v5, -v7, v5, v1
	v_cmp_lt_f32_e64 s[0:1], 0, v5
	v_cndmask_b32_e64 v5, v6, v7, s[0:1]
	v_mul_f32_e32 v6, 0x37800000, v5
	v_cndmask_b32_e32 v5, v5, v6, vcc
	v_mov_b32_e32 v6, 0x260
	v_cmp_class_f32_e32 vcc, v1, v6
	v_cndmask_b32_e32 v1, v5, v1, vcc
	v_div_scale_f32 v5, s[0:1], v1, v1, v3
	v_rcp_f32_e32 v6, v5
	v_fma_f32 v7, -v5, v6, 1.0
	v_fmac_f32_e32 v6, v7, v6
	v_div_scale_f32 v7, vcc, v3, v1, v3
	v_mul_f32_e32 v8, v7, v6
	v_fma_f32 v11, -v5, v8, v7
	v_fmac_f32_e32 v8, v11, v6
	v_fma_f32 v5, -v5, v8, v7
	v_div_fmas_f32 v5, v5, v6, v8
	v_div_fixup_f32 v6, v5, v1, v3
.LBB20_1713:
	s_or_b64 exec, exec, s[6:7]
	v_mul_lo_u32 v3, s12, v9
	v_ashrrev_i32_e32 v1, 31, v3
	v_mov_b32_e32 v5, s9
	v_add_co_u32_e32 v8, vcc, s8, v3
	v_addc_co_u32_e32 v9, vcc, v5, v1, vcc
	v_mov_b32_e32 v1, 11
	v_cmp_lt_i16_sdwa s[0:1], v10, v1 src0_sel:BYTE_0 src1_sel:DWORD
	s_and_b64 vcc, exec, s[0:1]
	s_cbranch_vccnz .LBB20_1720
; %bb.1714:
	v_mov_b32_e32 v1, 25
	v_cmp_gt_i16_sdwa s[0:1], v10, v1 src0_sel:BYTE_0 src1_sel:DWORD
	s_mov_b64 s[6:7], -1
	s_mov_b64 s[2:3], 0
	s_and_b64 vcc, exec, s[0:1]
	s_mov_b64 s[4:5], 0
	s_mov_b64 s[0:1], 0
	s_cbranch_vccz .LBB20_1752
; %bb.1715:
	v_mov_b32_e32 v1, 28
	v_cmp_gt_i16_sdwa s[0:1], v10, v1 src0_sel:BYTE_0 src1_sel:DWORD
	s_and_b64 vcc, exec, s[0:1]
	s_cbranch_vccz .LBB20_1721
; %bb.1716:
	v_mov_b32_e32 v1, 43
	v_cmp_gt_i16_sdwa s[0:1], v10, v1 src0_sel:BYTE_0 src1_sel:DWORD
	s_and_b64 vcc, exec, s[0:1]
	;; [unrolled: 5-line block ×3, first 2 shown]
	s_cbranch_vccz .LBB20_1724
; %bb.1718:
	v_mov_b32_e32 v1, 46
	v_cmp_eq_u16_sdwa s[4:5], v10, v1 src0_sel:BYTE_0 src1_sel:DWORD
	s_mov_b64 s[0:1], -1
	s_mov_b64 s[6:7], 0
	s_and_b64 vcc, exec, s[4:5]
	s_mov_b64 s[4:5], 0
	s_cbranch_vccz .LBB20_1725
; %bb.1719:
	v_bfe_u32 v1, v0, 16, 1
	s_movk_i32 s0, 0x7fff
	v_add3_u32 v1, v0, v1, s0
	v_lshrrev_b32_e32 v1, 16, v1
	v_mov_b32_e32 v5, 0x7fc0
	v_cmp_o_f32_e32 vcc, v0, v0
	v_cndmask_b32_e32 v1, v5, v1, vcc
	global_store_dword v[8:9], v1, off
	s_mov_b64 s[0:1], 0
	s_mov_b64 s[4:5], -1
	s_branch .LBB20_1725
.LBB20_1720:
	s_mov_b64 s[0:1], -1
	s_mov_b64 s[4:5], 0
	s_branch .LBB20_1796
.LBB20_1721:
	s_mov_b64 s[0:1], 0
	s_branch .LBB20_1735
.LBB20_1722:
	s_mov_b64 s[0:1], 0
	s_branch .LBB20_1731
.LBB20_1723:
	s_trap 2
	s_or_b64 s[20:21], s[20:21], exec
                                        ; implicit-def: $vgpr1
	s_cbranch_execz .LBB20_1599
	s_branch .LBB20_1600
.LBB20_1724:
	s_mov_b64 s[0:1], 0
.LBB20_1725:
	s_and_b64 vcc, exec, s[6:7]
	s_cbranch_vccz .LBB20_1730
; %bb.1726:
	v_mov_b32_e32 v1, 44
	v_cmp_eq_u16_sdwa s[6:7], v10, v1 src0_sel:BYTE_0 src1_sel:DWORD
	s_mov_b64 s[0:1], -1
	s_and_b64 vcc, exec, s[6:7]
	s_cbranch_vccz .LBB20_1730
; %bb.1727:
	v_bfe_u32 v1, v0, 23, 8
	s_movk_i32 s0, 0xff
	v_cmp_ne_u32_e32 vcc, s0, v1
	v_mov_b32_e32 v5, 0xff
	s_and_saveexec_b64 s[4:5], vcc
; %bb.1728:
	s_mov_b32 s0, 0x3fffff
	v_and_b32_e32 v7, 0x400000, v0
	v_and_or_b32 v1, v0, s0, v1
	v_cmp_ne_u32_e32 vcc, 0, v7
	v_cmp_ne_u32_e64 s[0:1], 0, v1
	s_and_b64 s[0:1], vcc, s[0:1]
	v_lshrrev_b32_e32 v5, 23, v0
	v_cndmask_b32_e64 v1, 0, 1, s[0:1]
	v_add_u32_e32 v5, v5, v1
; %bb.1729:
	s_or_b64 exec, exec, s[4:5]
	s_mov_b64 s[0:1], 0
	s_mov_b64 s[4:5], -1
	global_store_byte v[8:9], v5, off
.LBB20_1730:
	s_mov_b64 s[6:7], 0
.LBB20_1731:
	s_and_b64 vcc, exec, s[6:7]
	s_cbranch_vccz .LBB20_1734
; %bb.1732:
	v_mov_b32_e32 v1, 29
	v_cmp_eq_u16_sdwa s[6:7], v10, v1 src0_sel:BYTE_0 src1_sel:DWORD
	s_mov_b64 s[0:1], -1
	s_and_b64 vcc, exec, s[6:7]
	s_cbranch_vccz .LBB20_1734
; %bb.1733:
	v_trunc_f32_e32 v1, v0
	v_mul_f32_e32 v5, 0x2f800000, v1
	v_floor_f32_e32 v5, v5
	v_fmac_f32_e32 v1, 0xcf800000, v5
	v_cvt_u32_f32_e32 v13, v5
	v_cvt_u32_f32_e32 v12, v1
	s_mov_b64 s[0:1], 0
	s_mov_b64 s[4:5], -1
	s_mov_b64 s[6:7], 0
	global_store_dwordx2 v[8:9], v[12:13], off
	s_branch .LBB20_1735
.LBB20_1734:
	s_mov_b64 s[6:7], 0
.LBB20_1735:
	s_and_b64 vcc, exec, s[6:7]
	s_cbranch_vccz .LBB20_1751
; %bb.1736:
	v_mov_b32_e32 v1, 27
	v_cmp_lt_i16_sdwa s[6:7], v10, v1 src0_sel:BYTE_0 src1_sel:DWORD
	s_mov_b64 s[4:5], -1
	s_and_b64 vcc, exec, s[6:7]
	s_cbranch_vccnz .LBB20_1742
; %bb.1737:
	v_cmp_gt_i16_sdwa s[6:7], v10, v1 src0_sel:BYTE_0 src1_sel:DWORD
	v_cvt_u32_f32_e32 v1, v0
	s_and_b64 vcc, exec, s[6:7]
	s_cbranch_vccz .LBB20_1739
; %bb.1738:
	s_mov_b64 s[4:5], 0
	global_store_dword v[8:9], v1, off
.LBB20_1739:
	s_andn2_b64 vcc, exec, s[4:5]
	s_cbranch_vccnz .LBB20_1741
; %bb.1740:
	global_store_short v[8:9], v1, off
.LBB20_1741:
	s_mov_b64 s[4:5], 0
.LBB20_1742:
	s_andn2_b64 vcc, exec, s[4:5]
	s_cbranch_vccnz .LBB20_1750
; %bb.1743:
	v_and_b32_e32 v1, 0x7fffffff, v0
	s_mov_b32 s4, 0x43800000
	v_cmp_gt_u32_e32 vcc, s4, v1
	v_mov_b32_e32 v5, 0x80
	s_and_saveexec_b64 s[4:5], vcc
	s_cbranch_execz .LBB20_1749
; %bb.1744:
	s_mov_b32 s6, 0x3bffffff
	v_cmp_lt_u32_e32 vcc, s6, v1
	s_mov_b64 s[6:7], 0
                                        ; implicit-def: $vgpr1
	s_and_saveexec_b64 s[10:11], vcc
	s_xor_b64 s[10:11], exec, s[10:11]
	s_cbranch_execz .LBB20_1845
; %bb.1745:
	v_bfe_u32 v1, v0, 20, 1
	s_mov_b32 s13, 0x487ffff
	v_add3_u32 v1, v0, v1, s13
	s_mov_b64 s[6:7], exec
	v_lshrrev_b32_e32 v1, 20, v1
	s_or_saveexec_b64 s[10:11], s[10:11]
                                        ; implicit-def: $sgpr13
	s_xor_b64 exec, exec, s[10:11]
	s_cbranch_execnz .LBB20_1846
.LBB20_1746:
	s_or_b64 exec, exec, s[10:11]
	v_mov_b32_e32 v5, s13
	s_and_saveexec_b64 s[10:11], s[6:7]
.LBB20_1747:
	v_lshrrev_b32_e32 v5, 24, v0
	s_movk_i32 s6, 0x80
	v_and_or_b32 v5, v5, s6, v1
.LBB20_1748:
	s_or_b64 exec, exec, s[10:11]
.LBB20_1749:
	s_or_b64 exec, exec, s[4:5]
	global_store_byte v[8:9], v5, off
.LBB20_1750:
	s_mov_b64 s[4:5], -1
.LBB20_1751:
	s_mov_b64 s[6:7], 0
.LBB20_1752:
	s_and_b64 vcc, exec, s[6:7]
	s_cbranch_vccz .LBB20_1792
; %bb.1753:
	v_mov_b32_e32 v1, 22
	v_cmp_gt_i16_sdwa s[6:7], v10, v1 src0_sel:BYTE_0 src1_sel:DWORD
	s_mov_b64 s[2:3], -1
	s_and_b64 vcc, exec, s[6:7]
	s_cbranch_vccz .LBB20_1785
; %bb.1754:
	v_mov_b32_e32 v1, 24
	v_cmp_lt_i16_sdwa s[4:5], v10, v1 src0_sel:BYTE_0 src1_sel:DWORD
	s_and_b64 vcc, exec, s[4:5]
	s_cbranch_vccnz .LBB20_1774
; %bb.1755:
	v_cmp_gt_i16_sdwa s[4:5], v10, v1 src0_sel:BYTE_0 src1_sel:DWORD
	s_and_b64 vcc, exec, s[4:5]
	s_cbranch_vccz .LBB20_1763
; %bb.1756:
	v_and_b32_e32 v1, 0x7fffffff, v0
	s_mov_b32 s2, 0x47800000
	v_cmp_gt_u32_e32 vcc, s2, v1
	v_mov_b32_e32 v5, 0x80
	s_and_saveexec_b64 s[2:3], vcc
	s_cbranch_execz .LBB20_1762
; %bb.1757:
	s_mov_b32 s4, 0x37ffffff
	v_cmp_lt_u32_e32 vcc, s4, v1
	s_mov_b64 s[4:5], 0
                                        ; implicit-def: $vgpr1
	s_and_saveexec_b64 s[6:7], vcc
	s_xor_b64 s[6:7], exec, s[6:7]
	s_cbranch_execz .LBB20_1849
; %bb.1758:
	v_bfe_u32 v1, v0, 21, 1
	s_mov_b32 s10, 0x88fffff
	v_add3_u32 v1, v0, v1, s10
	s_mov_b64 s[4:5], exec
	v_lshrrev_b32_e32 v1, 21, v1
	s_or_saveexec_b64 s[6:7], s[6:7]
                                        ; implicit-def: $sgpr10
	s_xor_b64 exec, exec, s[6:7]
	s_cbranch_execnz .LBB20_1850
.LBB20_1759:
	s_or_b64 exec, exec, s[6:7]
	v_mov_b32_e32 v5, s10
	s_and_saveexec_b64 s[6:7], s[4:5]
.LBB20_1760:
	v_lshrrev_b32_e32 v5, 24, v0
	s_movk_i32 s4, 0x80
	v_and_or_b32 v5, v5, s4, v1
.LBB20_1761:
	s_or_b64 exec, exec, s[6:7]
.LBB20_1762:
	s_or_b64 exec, exec, s[2:3]
	s_mov_b64 s[2:3], 0
	global_store_byte v[8:9], v5, off
.LBB20_1763:
	s_and_b64 vcc, exec, s[2:3]
	s_cbranch_vccz .LBB20_1773
; %bb.1764:
	v_and_b32_e32 v5, 0x7fffffff, v0
	s_mov_b32 s2, 0x43f00000
	v_cmp_gt_u32_e32 vcc, s2, v5
                                        ; implicit-def: $vgpr1
	s_and_saveexec_b64 s[2:3], vcc
	s_xor_b64 s[2:3], exec, s[2:3]
	s_cbranch_execz .LBB20_1770
; %bb.1765:
	s_mov_b32 s4, 0x3c7fffff
	v_cmp_lt_u32_e32 vcc, s4, v5
                                        ; implicit-def: $vgpr1
	s_and_saveexec_b64 s[4:5], vcc
	s_xor_b64 s[4:5], exec, s[4:5]
; %bb.1766:
	v_bfe_u32 v1, v0, 20, 1
	s_mov_b32 s6, 0x407ffff
	v_add3_u32 v1, v0, v1, s6
	v_lshrrev_b32_e32 v5, 20, v1
	v_and_b32_e32 v1, 0xff00000, v1
	s_mov_b32 s6, 0x7f00000
	v_mov_b32_e32 v7, 0x7e
	v_cmp_ne_u32_e32 vcc, s6, v1
	v_cndmask_b32_e32 v1, v7, v5, vcc
; %bb.1767:
	s_andn2_saveexec_b64 s[4:5], s[4:5]
; %bb.1768:
	s_mov_b32 s6, 0x46800000
	v_add_f32_e64 v1, |v0|, s6
; %bb.1769:
	s_or_b64 exec, exec, s[4:5]
                                        ; implicit-def: $vgpr5
.LBB20_1770:
	s_andn2_saveexec_b64 s[2:3], s[2:3]
; %bb.1771:
	s_mov_b32 s4, 0x7f800000
	v_mov_b32_e32 v1, 0x7e
	v_mov_b32_e32 v7, 0x7f
	v_cmp_lt_u32_e32 vcc, s4, v5
	v_cndmask_b32_e32 v1, v1, v7, vcc
; %bb.1772:
	s_or_b64 exec, exec, s[2:3]
	v_lshrrev_b32_e32 v5, 24, v0
	s_movk_i32 s2, 0x80
	v_and_or_b32 v1, v5, s2, v1
	global_store_byte v[8:9], v1, off
.LBB20_1773:
	s_mov_b64 s[2:3], 0
.LBB20_1774:
	s_andn2_b64 vcc, exec, s[2:3]
	s_cbranch_vccnz .LBB20_1784
; %bb.1775:
	v_and_b32_e32 v5, 0x7fffffff, v0
	s_mov_b32 s2, 0x47800000
	v_cmp_gt_u32_e32 vcc, s2, v5
                                        ; implicit-def: $vgpr1
	s_and_saveexec_b64 s[2:3], vcc
	s_xor_b64 s[2:3], exec, s[2:3]
	s_cbranch_execz .LBB20_1781
; %bb.1776:
	s_mov_b32 s4, 0x387fffff
	v_cmp_lt_u32_e32 vcc, s4, v5
                                        ; implicit-def: $vgpr1
	s_and_saveexec_b64 s[4:5], vcc
	s_xor_b64 s[4:5], exec, s[4:5]
; %bb.1777:
	v_bfe_u32 v1, v0, 21, 1
	s_mov_b32 s6, 0x80fffff
	v_add3_u32 v1, v0, v1, s6
	v_lshrrev_b32_e32 v1, 21, v1
; %bb.1778:
	s_andn2_saveexec_b64 s[4:5], s[4:5]
; %bb.1779:
	s_mov_b32 s6, 0x43000000
	v_add_f32_e64 v1, |v0|, s6
; %bb.1780:
	s_or_b64 exec, exec, s[4:5]
                                        ; implicit-def: $vgpr5
.LBB20_1781:
	s_andn2_saveexec_b64 s[2:3], s[2:3]
; %bb.1782:
	s_mov_b32 s4, 0x7f800000
	v_mov_b32_e32 v1, 0x7c
	v_mov_b32_e32 v7, 0x7f
	v_cmp_lt_u32_e32 vcc, s4, v5
	v_cndmask_b32_e32 v1, v1, v7, vcc
; %bb.1783:
	s_or_b64 exec, exec, s[2:3]
	v_lshrrev_b32_e32 v5, 24, v0
	s_movk_i32 s2, 0x80
	v_and_or_b32 v1, v5, s2, v1
	global_store_byte v[8:9], v1, off
.LBB20_1784:
	s_mov_b64 s[2:3], 0
	s_mov_b64 s[4:5], -1
.LBB20_1785:
	s_andn2_b64 vcc, exec, s[2:3]
	s_mov_b64 s[2:3], 0
	s_cbranch_vccnz .LBB20_1792
; %bb.1786:
	v_mov_b32_e32 v1, 14
	v_cmp_gt_i16_sdwa s[2:3], v10, v1 src0_sel:BYTE_0 src1_sel:DWORD
	s_mov_b64 s[6:7], -1
	s_and_b64 vcc, exec, s[2:3]
	s_cbranch_vccz .LBB20_1790
; %bb.1787:
	v_mov_b32_e32 v1, 15
	v_cmp_eq_u16_sdwa s[2:3], v10, v1 src0_sel:BYTE_0 src1_sel:DWORD
	s_mov_b64 s[0:1], -1
	s_and_b64 vcc, exec, s[2:3]
	s_cbranch_vccz .LBB20_1789
; %bb.1788:
	v_bfe_u32 v1, v0, 16, 1
	s_movk_i32 s0, 0x7fff
	v_add3_u32 v1, v0, v1, s0
	v_lshrrev_b32_e32 v1, 16, v1
	v_mov_b32_e32 v5, 0x7fc0
	v_cmp_o_f32_e32 vcc, v0, v0
	v_cndmask_b32_e32 v1, v5, v1, vcc
	global_store_short v[8:9], v1, off
	s_mov_b64 s[0:1], 0
	s_mov_b64 s[4:5], -1
.LBB20_1789:
	s_mov_b64 s[6:7], 0
.LBB20_1790:
	s_mov_b64 s[2:3], 0
	s_and_b64 vcc, exec, s[6:7]
	s_cbranch_vccz .LBB20_1792
; %bb.1791:
	v_mov_b32_e32 v1, 11
	v_cmp_ne_u16_sdwa s[0:1], v10, v1 src0_sel:BYTE_0 src1_sel:DWORD
	s_mov_b64 s[2:3], -1
.LBB20_1792:
	s_and_b64 vcc, exec, s[0:1]
	s_cbranch_vccnz .LBB20_1848
; %bb.1793:
	s_andn2_b64 vcc, exec, s[2:3]
	s_cbranch_vccnz .LBB20_1795
.LBB20_1794:
	v_cmp_neq_f32_e32 vcc, 0, v0
	v_cndmask_b32_e64 v1, 0, 1, vcc
	s_mov_b64 s[4:5], -1
	global_store_byte v[8:9], v1, off
.LBB20_1795:
	s_mov_b64 s[0:1], 0
.LBB20_1796:
	s_and_b64 vcc, exec, s[0:1]
	s_cbranch_vccz .LBB20_1835
; %bb.1797:
	v_mov_b32_e32 v1, 5
	v_cmp_lt_i16_sdwa s[2:3], v10, v1 src0_sel:BYTE_0 src1_sel:DWORD
	s_mov_b64 s[0:1], -1
	s_and_b64 vcc, exec, s[2:3]
	s_cbranch_vccnz .LBB20_1818
; %bb.1798:
	v_mov_b32_e32 v1, 8
	v_cmp_lt_i16_sdwa s[2:3], v10, v1 src0_sel:BYTE_0 src1_sel:DWORD
	s_and_b64 vcc, exec, s[2:3]
	s_cbranch_vccnz .LBB20_1808
; %bb.1799:
	v_mov_b32_e32 v1, 9
	v_cmp_lt_i16_sdwa s[2:3], v10, v1 src0_sel:BYTE_0 src1_sel:DWORD
	s_and_b64 vcc, exec, s[2:3]
	s_cbranch_vccnz .LBB20_1805
; %bb.1800:
	v_cmp_gt_i16_sdwa s[2:3], v10, v1 src0_sel:BYTE_0 src1_sel:DWORD
	s_and_b64 vcc, exec, s[2:3]
	s_cbranch_vccz .LBB20_1802
; %bb.1801:
	v_mov_b32_e32 v14, 0
	v_cvt_f64_f32_e32 v[12:13], v0
	v_mov_b32_e32 v15, v14
	global_store_dwordx4 v[8:9], v[12:15], off
	s_mov_b64 s[0:1], 0
.LBB20_1802:
	s_andn2_b64 vcc, exec, s[0:1]
	s_cbranch_vccnz .LBB20_1804
; %bb.1803:
	v_mov_b32_e32 v1, 0
	global_store_dwordx2 v[8:9], v[0:1], off
.LBB20_1804:
	s_mov_b64 s[0:1], 0
.LBB20_1805:
	s_andn2_b64 vcc, exec, s[0:1]
	s_cbranch_vccnz .LBB20_1807
; %bb.1806:
	v_cvt_f16_f32_e32 v1, v0
	global_store_dword v[8:9], v1, off
.LBB20_1807:
	s_mov_b64 s[0:1], 0
.LBB20_1808:
	s_andn2_b64 vcc, exec, s[0:1]
	s_cbranch_vccnz .LBB20_1817
; %bb.1809:
	v_mov_b32_e32 v1, 6
	v_cmp_lt_i16_sdwa s[2:3], v10, v1 src0_sel:BYTE_0 src1_sel:DWORD
	s_mov_b64 s[0:1], -1
	s_and_b64 vcc, exec, s[2:3]
	s_cbranch_vccnz .LBB20_1815
; %bb.1810:
	v_cmp_gt_i16_sdwa s[2:3], v10, v1 src0_sel:BYTE_0 src1_sel:DWORD
	s_and_b64 vcc, exec, s[2:3]
	s_cbranch_vccz .LBB20_1812
; %bb.1811:
	v_cvt_f64_f32_e32 v[12:13], v0
	global_store_dwordx2 v[8:9], v[12:13], off
	s_mov_b64 s[0:1], 0
.LBB20_1812:
	s_andn2_b64 vcc, exec, s[0:1]
	s_cbranch_vccnz .LBB20_1814
; %bb.1813:
	global_store_dword v[8:9], v0, off
.LBB20_1814:
	s_mov_b64 s[0:1], 0
.LBB20_1815:
	s_andn2_b64 vcc, exec, s[0:1]
	s_cbranch_vccnz .LBB20_1817
; %bb.1816:
	v_cvt_f16_f32_e32 v1, v0
	global_store_short v[8:9], v1, off
.LBB20_1817:
	s_mov_b64 s[0:1], 0
.LBB20_1818:
	s_andn2_b64 vcc, exec, s[0:1]
	s_cbranch_vccnz .LBB20_1834
; %bb.1819:
	v_mov_b32_e32 v1, 2
	v_cmp_lt_i16_sdwa s[2:3], v10, v1 src0_sel:BYTE_0 src1_sel:DWORD
	s_mov_b64 s[0:1], -1
	s_and_b64 vcc, exec, s[2:3]
	s_cbranch_vccnz .LBB20_1829
; %bb.1820:
	v_mov_b32_e32 v1, 3
	v_cmp_lt_i16_sdwa s[2:3], v10, v1 src0_sel:BYTE_0 src1_sel:DWORD
	s_and_b64 vcc, exec, s[2:3]
	s_cbranch_vccnz .LBB20_1826
; %bb.1821:
	v_cmp_gt_i16_sdwa s[2:3], v10, v1 src0_sel:BYTE_0 src1_sel:DWORD
	s_and_b64 vcc, exec, s[2:3]
	s_cbranch_vccz .LBB20_1823
; %bb.1822:
	v_trunc_f32_e32 v1, v0
	s_mov_b32 s0, 0x2f800000
	v_mul_f32_e64 v5, |v1|, s0
	v_floor_f32_e32 v5, v5
	s_mov_b32 s0, 0xcf800000
	v_cvt_u32_f32_e32 v7, v5
	v_fma_f32 v5, v5, s0, |v1|
	v_cvt_u32_f32_e32 v5, v5
	v_ashrrev_i32_e32 v1, 31, v1
	v_xor_b32_e32 v7, v7, v1
	s_mov_b64 s[0:1], 0
	v_xor_b32_e32 v5, v5, v1
	v_sub_co_u32_e32 v12, vcc, v5, v1
	v_subb_co_u32_e32 v13, vcc, v7, v1, vcc
	global_store_dwordx2 v[8:9], v[12:13], off
.LBB20_1823:
	s_andn2_b64 vcc, exec, s[0:1]
	s_cbranch_vccnz .LBB20_1825
; %bb.1824:
	v_cvt_i32_f32_e32 v1, v0
	global_store_dword v[8:9], v1, off
.LBB20_1825:
	s_mov_b64 s[0:1], 0
.LBB20_1826:
	s_andn2_b64 vcc, exec, s[0:1]
	s_cbranch_vccnz .LBB20_1828
; %bb.1827:
	v_cvt_i32_f32_e32 v1, v0
	global_store_short v[8:9], v1, off
.LBB20_1828:
	s_mov_b64 s[0:1], 0
.LBB20_1829:
	s_andn2_b64 vcc, exec, s[0:1]
	s_cbranch_vccnz .LBB20_1834
; %bb.1830:
	v_mov_b32_e32 v1, 0
	v_cmp_gt_i16_sdwa s[2:3], v10, v1 src0_sel:BYTE_0 src1_sel:DWORD
	s_mov_b64 s[0:1], -1
	s_and_b64 vcc, exec, s[2:3]
	s_cbranch_vccz .LBB20_1832
; %bb.1831:
	v_cvt_i32_f32_e32 v1, v0
	s_mov_b64 s[0:1], 0
	global_store_byte v[8:9], v1, off
.LBB20_1832:
	s_andn2_b64 vcc, exec, s[0:1]
	s_cbranch_vccnz .LBB20_1834
; %bb.1833:
	v_trunc_f32_e32 v0, v0
	s_mov_b32 s0, 0x2f800000
	v_mul_f32_e64 v1, |v0|, s0
	v_floor_f32_e32 v1, v1
	s_mov_b32 s0, 0xcf800000
	v_fma_f32 v1, v1, s0, |v0|
	v_cvt_u32_f32_e32 v1, v1
	v_ashrrev_i32_e32 v0, 31, v0
	v_xor_b32_e32 v1, v1, v0
	v_sub_u32_e32 v0, v1, v0
	global_store_byte v[8:9], v0, off
.LBB20_1834:
	s_mov_b64 s[4:5], -1
.LBB20_1835:
	s_andn2_b64 vcc, exec, s[4:5]
	s_cbranch_vccnz .LBB20_2166
; %bb.1836:
	s_lshl_b32 s12, s12, 7
	v_add_u32_e32 v5, s12, v3
	v_ashrrev_i32_e32 v1, 31, v5
	v_mov_b32_e32 v3, s9
	v_add_co_u32_e32 v0, vcc, s8, v5
	v_addc_co_u32_e32 v1, vcc, v3, v1, vcc
	v_mov_b32_e32 v3, 11
	v_cmp_lt_i16_sdwa s[0:1], v10, v3 src0_sel:BYTE_0 src1_sel:DWORD
	s_and_b64 vcc, exec, s[0:1]
	s_cbranch_vccnz .LBB20_1843
; %bb.1837:
	v_mov_b32_e32 v3, 25
	v_cmp_gt_i16_sdwa s[0:1], v10, v3 src0_sel:BYTE_0 src1_sel:DWORD
	s_mov_b64 s[6:7], -1
	s_mov_b64 s[2:3], 0
	s_and_b64 vcc, exec, s[0:1]
	s_mov_b64 s[4:5], 0
	s_mov_b64 s[0:1], 0
	s_cbranch_vccz .LBB20_1879
; %bb.1838:
	v_mov_b32_e32 v3, 28
	v_cmp_gt_i16_sdwa s[0:1], v10, v3 src0_sel:BYTE_0 src1_sel:DWORD
	s_and_b64 vcc, exec, s[0:1]
	s_cbranch_vccz .LBB20_1844
; %bb.1839:
	v_mov_b32_e32 v3, 43
	v_cmp_gt_i16_sdwa s[0:1], v10, v3 src0_sel:BYTE_0 src1_sel:DWORD
	s_and_b64 vcc, exec, s[0:1]
	;; [unrolled: 5-line block ×3, first 2 shown]
	s_cbranch_vccz .LBB20_1851
; %bb.1841:
	v_mov_b32_e32 v3, 46
	v_cmp_eq_u16_sdwa s[4:5], v10, v3 src0_sel:BYTE_0 src1_sel:DWORD
	s_mov_b64 s[0:1], -1
	s_mov_b64 s[6:7], 0
	s_and_b64 vcc, exec, s[4:5]
	s_mov_b64 s[4:5], 0
	s_cbranch_vccz .LBB20_1852
; %bb.1842:
	v_bfe_u32 v3, v2, 16, 1
	s_movk_i32 s0, 0x7fff
	v_add3_u32 v3, v2, v3, s0
	v_lshrrev_b32_e32 v3, 16, v3
	v_mov_b32_e32 v7, 0x7fc0
	v_cmp_o_f32_e32 vcc, v2, v2
	v_cndmask_b32_e32 v3, v7, v3, vcc
	global_store_dword v[0:1], v3, off
	s_mov_b64 s[0:1], 0
	s_mov_b64 s[4:5], -1
	s_branch .LBB20_1852
.LBB20_1843:
	s_mov_b64 s[0:1], -1
	s_mov_b64 s[4:5], 0
	s_branch .LBB20_1923
.LBB20_1844:
	s_mov_b64 s[0:1], 0
	s_branch .LBB20_1862
.LBB20_1845:
	s_or_saveexec_b64 s[10:11], s[10:11]
                                        ; implicit-def: $sgpr13
	s_xor_b64 exec, exec, s[10:11]
	s_cbranch_execz .LBB20_1746
.LBB20_1846:
	s_mov_b32 s13, 0x46000000
	v_add_f32_e64 v1, |v0|, s13
	v_and_b32_e32 v1, 0xff, v1
	v_cmp_ne_u32_e32 vcc, 0, v1
	s_andn2_b64 s[6:7], s[6:7], exec
	s_and_b64 s[14:15], vcc, exec
	s_mov_b32 s13, 0
	s_or_b64 s[6:7], s[6:7], s[14:15]
	s_or_b64 exec, exec, s[10:11]
	v_mov_b32_e32 v5, s13
	s_and_saveexec_b64 s[10:11], s[6:7]
	s_cbranch_execnz .LBB20_1747
	s_branch .LBB20_1748
.LBB20_1847:
	s_mov_b64 s[0:1], 0
	s_branch .LBB20_1858
.LBB20_1848:
	s_trap 2
	s_or_b64 s[20:21], s[20:21], exec
	s_cbranch_execz .LBB20_1794
	s_branch .LBB20_1795
.LBB20_1849:
	s_or_saveexec_b64 s[6:7], s[6:7]
                                        ; implicit-def: $sgpr10
	s_xor_b64 exec, exec, s[6:7]
	s_cbranch_execz .LBB20_1759
.LBB20_1850:
	s_mov_b32 s10, 0x42800000
	v_add_f32_e64 v1, |v0|, s10
	v_and_b32_e32 v1, 0xff, v1
	v_cmp_ne_u32_e32 vcc, 0, v1
	s_andn2_b64 s[4:5], s[4:5], exec
	s_and_b64 s[14:15], vcc, exec
	s_mov_b32 s10, 0
	s_or_b64 s[4:5], s[4:5], s[14:15]
	s_or_b64 exec, exec, s[6:7]
	v_mov_b32_e32 v5, s10
	s_and_saveexec_b64 s[6:7], s[4:5]
	s_cbranch_execnz .LBB20_1760
	s_branch .LBB20_1761
.LBB20_1851:
	s_mov_b64 s[0:1], 0
.LBB20_1852:
	s_and_b64 vcc, exec, s[6:7]
	s_cbranch_vccz .LBB20_1857
; %bb.1853:
	v_mov_b32_e32 v3, 44
	v_cmp_eq_u16_sdwa s[6:7], v10, v3 src0_sel:BYTE_0 src1_sel:DWORD
	s_mov_b64 s[0:1], -1
	s_and_b64 vcc, exec, s[6:7]
	s_cbranch_vccz .LBB20_1857
; %bb.1854:
	v_bfe_u32 v3, v2, 23, 8
	s_movk_i32 s0, 0xff
	v_cmp_ne_u32_e32 vcc, s0, v3
	v_mov_b32_e32 v7, 0xff
	s_and_saveexec_b64 s[4:5], vcc
; %bb.1855:
	s_mov_b32 s0, 0x3fffff
	v_and_b32_e32 v8, 0x400000, v2
	v_and_or_b32 v3, v2, s0, v3
	v_cmp_ne_u32_e32 vcc, 0, v8
	v_cmp_ne_u32_e64 s[0:1], 0, v3
	s_and_b64 s[0:1], vcc, s[0:1]
	v_lshrrev_b32_e32 v7, 23, v2
	v_cndmask_b32_e64 v3, 0, 1, s[0:1]
	v_add_u32_e32 v7, v7, v3
; %bb.1856:
	s_or_b64 exec, exec, s[4:5]
	s_mov_b64 s[0:1], 0
	s_mov_b64 s[4:5], -1
	global_store_byte v[0:1], v7, off
.LBB20_1857:
	s_mov_b64 s[6:7], 0
.LBB20_1858:
	s_and_b64 vcc, exec, s[6:7]
	s_cbranch_vccz .LBB20_1861
; %bb.1859:
	v_mov_b32_e32 v3, 29
	v_cmp_eq_u16_sdwa s[6:7], v10, v3 src0_sel:BYTE_0 src1_sel:DWORD
	s_mov_b64 s[0:1], -1
	s_and_b64 vcc, exec, s[6:7]
	s_cbranch_vccz .LBB20_1861
; %bb.1860:
	v_trunc_f32_e32 v3, v2
	v_mul_f32_e32 v7, 0x2f800000, v3
	v_floor_f32_e32 v7, v7
	v_fmac_f32_e32 v3, 0xcf800000, v7
	v_cvt_u32_f32_e32 v9, v7
	v_cvt_u32_f32_e32 v8, v3
	s_mov_b64 s[0:1], 0
	s_mov_b64 s[4:5], -1
	s_mov_b64 s[6:7], 0
	global_store_dwordx2 v[0:1], v[8:9], off
	s_branch .LBB20_1862
.LBB20_1861:
	s_mov_b64 s[6:7], 0
.LBB20_1862:
	s_and_b64 vcc, exec, s[6:7]
	s_cbranch_vccz .LBB20_1878
; %bb.1863:
	v_mov_b32_e32 v3, 27
	v_cmp_lt_i16_sdwa s[6:7], v10, v3 src0_sel:BYTE_0 src1_sel:DWORD
	s_mov_b64 s[4:5], -1
	s_and_b64 vcc, exec, s[6:7]
	s_cbranch_vccnz .LBB20_1869
; %bb.1864:
	v_cmp_gt_i16_sdwa s[6:7], v10, v3 src0_sel:BYTE_0 src1_sel:DWORD
	v_cvt_u32_f32_e32 v3, v2
	s_and_b64 vcc, exec, s[6:7]
	s_cbranch_vccz .LBB20_1866
; %bb.1865:
	s_mov_b64 s[4:5], 0
	global_store_dword v[0:1], v3, off
.LBB20_1866:
	s_andn2_b64 vcc, exec, s[4:5]
	s_cbranch_vccnz .LBB20_1868
; %bb.1867:
	global_store_short v[0:1], v3, off
.LBB20_1868:
	s_mov_b64 s[4:5], 0
.LBB20_1869:
	s_andn2_b64 vcc, exec, s[4:5]
	s_cbranch_vccnz .LBB20_1877
; %bb.1870:
	v_and_b32_e32 v3, 0x7fffffff, v2
	s_mov_b32 s4, 0x43800000
	v_cmp_gt_u32_e32 vcc, s4, v3
	v_mov_b32_e32 v7, 0x80
	s_and_saveexec_b64 s[4:5], vcc
	s_cbranch_execz .LBB20_1876
; %bb.1871:
	s_mov_b32 s6, 0x3bffffff
	v_cmp_lt_u32_e32 vcc, s6, v3
	s_mov_b64 s[6:7], 0
                                        ; implicit-def: $vgpr3
	s_and_saveexec_b64 s[10:11], vcc
	s_xor_b64 s[10:11], exec, s[10:11]
	s_cbranch_execz .LBB20_1972
; %bb.1872:
	v_bfe_u32 v3, v2, 20, 1
	s_mov_b32 s13, 0x487ffff
	v_add3_u32 v3, v2, v3, s13
	s_mov_b64 s[6:7], exec
	v_lshrrev_b32_e32 v3, 20, v3
	s_or_saveexec_b64 s[10:11], s[10:11]
                                        ; implicit-def: $sgpr13
	s_xor_b64 exec, exec, s[10:11]
	s_cbranch_execnz .LBB20_1973
.LBB20_1873:
	s_or_b64 exec, exec, s[10:11]
	v_mov_b32_e32 v7, s13
	s_and_saveexec_b64 s[10:11], s[6:7]
.LBB20_1874:
	v_lshrrev_b32_e32 v7, 24, v2
	s_movk_i32 s6, 0x80
	v_and_or_b32 v7, v7, s6, v3
.LBB20_1875:
	s_or_b64 exec, exec, s[10:11]
.LBB20_1876:
	s_or_b64 exec, exec, s[4:5]
	global_store_byte v[0:1], v7, off
.LBB20_1877:
	s_mov_b64 s[4:5], -1
.LBB20_1878:
	s_mov_b64 s[6:7], 0
.LBB20_1879:
	s_and_b64 vcc, exec, s[6:7]
	s_cbranch_vccz .LBB20_1919
; %bb.1880:
	v_mov_b32_e32 v3, 22
	v_cmp_gt_i16_sdwa s[6:7], v10, v3 src0_sel:BYTE_0 src1_sel:DWORD
	s_mov_b64 s[2:3], -1
	s_and_b64 vcc, exec, s[6:7]
	s_cbranch_vccz .LBB20_1912
; %bb.1881:
	v_mov_b32_e32 v3, 24
	v_cmp_lt_i16_sdwa s[4:5], v10, v3 src0_sel:BYTE_0 src1_sel:DWORD
	s_and_b64 vcc, exec, s[4:5]
	s_cbranch_vccnz .LBB20_1901
; %bb.1882:
	v_cmp_gt_i16_sdwa s[4:5], v10, v3 src0_sel:BYTE_0 src1_sel:DWORD
	s_and_b64 vcc, exec, s[4:5]
	s_cbranch_vccz .LBB20_1890
; %bb.1883:
	v_and_b32_e32 v3, 0x7fffffff, v2
	s_mov_b32 s2, 0x47800000
	v_cmp_gt_u32_e32 vcc, s2, v3
	v_mov_b32_e32 v7, 0x80
	s_and_saveexec_b64 s[2:3], vcc
	s_cbranch_execz .LBB20_1889
; %bb.1884:
	s_mov_b32 s4, 0x37ffffff
	v_cmp_lt_u32_e32 vcc, s4, v3
	s_mov_b64 s[4:5], 0
                                        ; implicit-def: $vgpr3
	s_and_saveexec_b64 s[6:7], vcc
	s_xor_b64 s[6:7], exec, s[6:7]
	s_cbranch_execz .LBB20_1976
; %bb.1885:
	v_bfe_u32 v3, v2, 21, 1
	s_mov_b32 s10, 0x88fffff
	v_add3_u32 v3, v2, v3, s10
	s_mov_b64 s[4:5], exec
	v_lshrrev_b32_e32 v3, 21, v3
	s_or_saveexec_b64 s[6:7], s[6:7]
                                        ; implicit-def: $sgpr10
	s_xor_b64 exec, exec, s[6:7]
	s_cbranch_execnz .LBB20_1977
.LBB20_1886:
	s_or_b64 exec, exec, s[6:7]
	v_mov_b32_e32 v7, s10
	s_and_saveexec_b64 s[6:7], s[4:5]
.LBB20_1887:
	v_lshrrev_b32_e32 v7, 24, v2
	s_movk_i32 s4, 0x80
	v_and_or_b32 v7, v7, s4, v3
.LBB20_1888:
	s_or_b64 exec, exec, s[6:7]
.LBB20_1889:
	s_or_b64 exec, exec, s[2:3]
	s_mov_b64 s[2:3], 0
	global_store_byte v[0:1], v7, off
.LBB20_1890:
	s_and_b64 vcc, exec, s[2:3]
	s_cbranch_vccz .LBB20_1900
; %bb.1891:
	v_and_b32_e32 v7, 0x7fffffff, v2
	s_mov_b32 s2, 0x43f00000
	v_cmp_gt_u32_e32 vcc, s2, v7
                                        ; implicit-def: $vgpr3
	s_and_saveexec_b64 s[2:3], vcc
	s_xor_b64 s[2:3], exec, s[2:3]
	s_cbranch_execz .LBB20_1897
; %bb.1892:
	s_mov_b32 s4, 0x3c7fffff
	v_cmp_lt_u32_e32 vcc, s4, v7
                                        ; implicit-def: $vgpr3
	s_and_saveexec_b64 s[4:5], vcc
	s_xor_b64 s[4:5], exec, s[4:5]
; %bb.1893:
	v_bfe_u32 v3, v2, 20, 1
	s_mov_b32 s6, 0x407ffff
	v_add3_u32 v3, v2, v3, s6
	v_lshrrev_b32_e32 v7, 20, v3
	v_and_b32_e32 v3, 0xff00000, v3
	s_mov_b32 s6, 0x7f00000
	v_mov_b32_e32 v8, 0x7e
	v_cmp_ne_u32_e32 vcc, s6, v3
	v_cndmask_b32_e32 v3, v8, v7, vcc
; %bb.1894:
	s_andn2_saveexec_b64 s[4:5], s[4:5]
; %bb.1895:
	s_mov_b32 s6, 0x46800000
	v_add_f32_e64 v3, |v2|, s6
; %bb.1896:
	s_or_b64 exec, exec, s[4:5]
                                        ; implicit-def: $vgpr7
.LBB20_1897:
	s_andn2_saveexec_b64 s[2:3], s[2:3]
; %bb.1898:
	s_mov_b32 s4, 0x7f800000
	v_mov_b32_e32 v3, 0x7e
	v_mov_b32_e32 v8, 0x7f
	v_cmp_lt_u32_e32 vcc, s4, v7
	v_cndmask_b32_e32 v3, v3, v8, vcc
; %bb.1899:
	s_or_b64 exec, exec, s[2:3]
	v_lshrrev_b32_e32 v7, 24, v2
	s_movk_i32 s2, 0x80
	v_and_or_b32 v3, v7, s2, v3
	global_store_byte v[0:1], v3, off
.LBB20_1900:
	s_mov_b64 s[2:3], 0
.LBB20_1901:
	s_andn2_b64 vcc, exec, s[2:3]
	s_cbranch_vccnz .LBB20_1911
; %bb.1902:
	v_and_b32_e32 v7, 0x7fffffff, v2
	s_mov_b32 s2, 0x47800000
	v_cmp_gt_u32_e32 vcc, s2, v7
                                        ; implicit-def: $vgpr3
	s_and_saveexec_b64 s[2:3], vcc
	s_xor_b64 s[2:3], exec, s[2:3]
	s_cbranch_execz .LBB20_1908
; %bb.1903:
	s_mov_b32 s4, 0x387fffff
	v_cmp_lt_u32_e32 vcc, s4, v7
                                        ; implicit-def: $vgpr3
	s_and_saveexec_b64 s[4:5], vcc
	s_xor_b64 s[4:5], exec, s[4:5]
; %bb.1904:
	v_bfe_u32 v3, v2, 21, 1
	s_mov_b32 s6, 0x80fffff
	v_add3_u32 v3, v2, v3, s6
	v_lshrrev_b32_e32 v3, 21, v3
; %bb.1905:
	s_andn2_saveexec_b64 s[4:5], s[4:5]
; %bb.1906:
	s_mov_b32 s6, 0x43000000
	v_add_f32_e64 v3, |v2|, s6
; %bb.1907:
	s_or_b64 exec, exec, s[4:5]
                                        ; implicit-def: $vgpr7
.LBB20_1908:
	s_andn2_saveexec_b64 s[2:3], s[2:3]
; %bb.1909:
	s_mov_b32 s4, 0x7f800000
	v_mov_b32_e32 v3, 0x7c
	v_mov_b32_e32 v8, 0x7f
	v_cmp_lt_u32_e32 vcc, s4, v7
	v_cndmask_b32_e32 v3, v3, v8, vcc
; %bb.1910:
	s_or_b64 exec, exec, s[2:3]
	v_lshrrev_b32_e32 v7, 24, v2
	s_movk_i32 s2, 0x80
	v_and_or_b32 v3, v7, s2, v3
	global_store_byte v[0:1], v3, off
.LBB20_1911:
	s_mov_b64 s[2:3], 0
	s_mov_b64 s[4:5], -1
.LBB20_1912:
	s_andn2_b64 vcc, exec, s[2:3]
	s_mov_b64 s[2:3], 0
	s_cbranch_vccnz .LBB20_1919
; %bb.1913:
	v_mov_b32_e32 v3, 14
	v_cmp_gt_i16_sdwa s[2:3], v10, v3 src0_sel:BYTE_0 src1_sel:DWORD
	s_mov_b64 s[6:7], -1
	s_and_b64 vcc, exec, s[2:3]
	s_cbranch_vccz .LBB20_1917
; %bb.1914:
	v_mov_b32_e32 v3, 15
	v_cmp_eq_u16_sdwa s[2:3], v10, v3 src0_sel:BYTE_0 src1_sel:DWORD
	s_mov_b64 s[0:1], -1
	s_and_b64 vcc, exec, s[2:3]
	s_cbranch_vccz .LBB20_1916
; %bb.1915:
	v_bfe_u32 v3, v2, 16, 1
	s_movk_i32 s0, 0x7fff
	v_add3_u32 v3, v2, v3, s0
	v_lshrrev_b32_e32 v3, 16, v3
	v_mov_b32_e32 v7, 0x7fc0
	v_cmp_o_f32_e32 vcc, v2, v2
	v_cndmask_b32_e32 v3, v7, v3, vcc
	global_store_short v[0:1], v3, off
	s_mov_b64 s[0:1], 0
	s_mov_b64 s[4:5], -1
.LBB20_1916:
	s_mov_b64 s[6:7], 0
.LBB20_1917:
	s_mov_b64 s[2:3], 0
	s_and_b64 vcc, exec, s[6:7]
	s_cbranch_vccz .LBB20_1919
; %bb.1918:
	v_mov_b32_e32 v3, 11
	v_cmp_ne_u16_sdwa s[0:1], v10, v3 src0_sel:BYTE_0 src1_sel:DWORD
	s_mov_b64 s[2:3], -1
.LBB20_1919:
	s_and_b64 vcc, exec, s[0:1]
	s_cbranch_vccnz .LBB20_1975
; %bb.1920:
	s_andn2_b64 vcc, exec, s[2:3]
	s_cbranch_vccnz .LBB20_1922
.LBB20_1921:
	v_cmp_neq_f32_e32 vcc, 0, v2
	v_cndmask_b32_e64 v3, 0, 1, vcc
	s_mov_b64 s[4:5], -1
	global_store_byte v[0:1], v3, off
.LBB20_1922:
	s_mov_b64 s[0:1], 0
.LBB20_1923:
	s_and_b64 vcc, exec, s[0:1]
	s_cbranch_vccz .LBB20_1962
; %bb.1924:
	v_mov_b32_e32 v3, 5
	v_cmp_lt_i16_sdwa s[2:3], v10, v3 src0_sel:BYTE_0 src1_sel:DWORD
	s_mov_b64 s[0:1], -1
	s_and_b64 vcc, exec, s[2:3]
	s_cbranch_vccnz .LBB20_1945
; %bb.1925:
	v_mov_b32_e32 v3, 8
	v_cmp_lt_i16_sdwa s[2:3], v10, v3 src0_sel:BYTE_0 src1_sel:DWORD
	s_and_b64 vcc, exec, s[2:3]
	s_cbranch_vccnz .LBB20_1935
; %bb.1926:
	v_mov_b32_e32 v3, 9
	v_cmp_lt_i16_sdwa s[2:3], v10, v3 src0_sel:BYTE_0 src1_sel:DWORD
	s_and_b64 vcc, exec, s[2:3]
	s_cbranch_vccnz .LBB20_1932
; %bb.1927:
	v_cmp_gt_i16_sdwa s[2:3], v10, v3 src0_sel:BYTE_0 src1_sel:DWORD
	s_and_b64 vcc, exec, s[2:3]
	s_cbranch_vccz .LBB20_1929
; %bb.1928:
	v_mov_b32_e32 v14, 0
	v_cvt_f64_f32_e32 v[12:13], v2
	v_mov_b32_e32 v15, v14
	global_store_dwordx4 v[0:1], v[12:15], off
	s_mov_b64 s[0:1], 0
.LBB20_1929:
	s_andn2_b64 vcc, exec, s[0:1]
	s_cbranch_vccnz .LBB20_1931
; %bb.1930:
	v_mov_b32_e32 v3, 0
	global_store_dwordx2 v[0:1], v[2:3], off
.LBB20_1931:
	s_mov_b64 s[0:1], 0
.LBB20_1932:
	s_andn2_b64 vcc, exec, s[0:1]
	s_cbranch_vccnz .LBB20_1934
; %bb.1933:
	v_cvt_f16_f32_e32 v3, v2
	global_store_dword v[0:1], v3, off
.LBB20_1934:
	s_mov_b64 s[0:1], 0
.LBB20_1935:
	s_andn2_b64 vcc, exec, s[0:1]
	s_cbranch_vccnz .LBB20_1944
; %bb.1936:
	v_mov_b32_e32 v3, 6
	v_cmp_lt_i16_sdwa s[2:3], v10, v3 src0_sel:BYTE_0 src1_sel:DWORD
	s_mov_b64 s[0:1], -1
	s_and_b64 vcc, exec, s[2:3]
	s_cbranch_vccnz .LBB20_1942
; %bb.1937:
	v_cmp_gt_i16_sdwa s[2:3], v10, v3 src0_sel:BYTE_0 src1_sel:DWORD
	s_and_b64 vcc, exec, s[2:3]
	s_cbranch_vccz .LBB20_1939
; %bb.1938:
	v_cvt_f64_f32_e32 v[8:9], v2
	global_store_dwordx2 v[0:1], v[8:9], off
	s_mov_b64 s[0:1], 0
.LBB20_1939:
	s_andn2_b64 vcc, exec, s[0:1]
	s_cbranch_vccnz .LBB20_1941
; %bb.1940:
	global_store_dword v[0:1], v2, off
.LBB20_1941:
	s_mov_b64 s[0:1], 0
.LBB20_1942:
	s_andn2_b64 vcc, exec, s[0:1]
	s_cbranch_vccnz .LBB20_1944
; %bb.1943:
	v_cvt_f16_f32_e32 v3, v2
	global_store_short v[0:1], v3, off
.LBB20_1944:
	s_mov_b64 s[0:1], 0
.LBB20_1945:
	s_andn2_b64 vcc, exec, s[0:1]
	s_cbranch_vccnz .LBB20_1961
; %bb.1946:
	v_mov_b32_e32 v3, 2
	v_cmp_lt_i16_sdwa s[2:3], v10, v3 src0_sel:BYTE_0 src1_sel:DWORD
	s_mov_b64 s[0:1], -1
	s_and_b64 vcc, exec, s[2:3]
	s_cbranch_vccnz .LBB20_1956
; %bb.1947:
	v_mov_b32_e32 v3, 3
	v_cmp_lt_i16_sdwa s[2:3], v10, v3 src0_sel:BYTE_0 src1_sel:DWORD
	s_and_b64 vcc, exec, s[2:3]
	s_cbranch_vccnz .LBB20_1953
; %bb.1948:
	v_cmp_gt_i16_sdwa s[2:3], v10, v3 src0_sel:BYTE_0 src1_sel:DWORD
	s_and_b64 vcc, exec, s[2:3]
	s_cbranch_vccz .LBB20_1950
; %bb.1949:
	v_trunc_f32_e32 v3, v2
	s_mov_b32 s0, 0x2f800000
	v_mul_f32_e64 v7, |v3|, s0
	v_floor_f32_e32 v7, v7
	s_mov_b32 s0, 0xcf800000
	v_cvt_u32_f32_e32 v8, v7
	v_fma_f32 v7, v7, s0, |v3|
	v_cvt_u32_f32_e32 v7, v7
	v_ashrrev_i32_e32 v3, 31, v3
	v_xor_b32_e32 v9, v8, v3
	s_mov_b64 s[0:1], 0
	v_xor_b32_e32 v7, v7, v3
	v_sub_co_u32_e32 v8, vcc, v7, v3
	v_subb_co_u32_e32 v9, vcc, v9, v3, vcc
	global_store_dwordx2 v[0:1], v[8:9], off
.LBB20_1950:
	s_andn2_b64 vcc, exec, s[0:1]
	s_cbranch_vccnz .LBB20_1952
; %bb.1951:
	v_cvt_i32_f32_e32 v3, v2
	global_store_dword v[0:1], v3, off
.LBB20_1952:
	s_mov_b64 s[0:1], 0
.LBB20_1953:
	s_andn2_b64 vcc, exec, s[0:1]
	s_cbranch_vccnz .LBB20_1955
; %bb.1954:
	v_cvt_i32_f32_e32 v3, v2
	global_store_short v[0:1], v3, off
.LBB20_1955:
	s_mov_b64 s[0:1], 0
.LBB20_1956:
	s_andn2_b64 vcc, exec, s[0:1]
	s_cbranch_vccnz .LBB20_1961
; %bb.1957:
	v_mov_b32_e32 v3, 0
	v_cmp_gt_i16_sdwa s[2:3], v10, v3 src0_sel:BYTE_0 src1_sel:DWORD
	s_mov_b64 s[0:1], -1
	s_and_b64 vcc, exec, s[2:3]
	s_cbranch_vccz .LBB20_1959
; %bb.1958:
	v_cvt_i32_f32_e32 v3, v2
	s_mov_b64 s[0:1], 0
	global_store_byte v[0:1], v3, off
.LBB20_1959:
	s_andn2_b64 vcc, exec, s[0:1]
	s_cbranch_vccnz .LBB20_1961
; %bb.1960:
	v_trunc_f32_e32 v2, v2
	s_mov_b32 s0, 0x2f800000
	v_mul_f32_e64 v3, |v2|, s0
	v_floor_f32_e32 v3, v3
	s_mov_b32 s0, 0xcf800000
	v_fma_f32 v3, v3, s0, |v2|
	v_cvt_u32_f32_e32 v3, v3
	v_ashrrev_i32_e32 v2, 31, v2
	v_xor_b32_e32 v3, v3, v2
	v_sub_u32_e32 v2, v3, v2
	global_store_byte v[0:1], v2, off
.LBB20_1961:
	s_mov_b64 s[4:5], -1
.LBB20_1962:
	s_andn2_b64 vcc, exec, s[4:5]
	s_cbranch_vccnz .LBB20_2166
; %bb.1963:
	v_add_u32_e32 v2, s12, v5
	v_ashrrev_i32_e32 v1, 31, v2
	v_mov_b32_e32 v3, s9
	v_add_co_u32_e32 v0, vcc, s8, v2
	v_addc_co_u32_e32 v1, vcc, v3, v1, vcc
	v_mov_b32_e32 v3, 11
	v_cmp_lt_i16_sdwa s[0:1], v10, v3 src0_sel:BYTE_0 src1_sel:DWORD
	s_and_b64 vcc, exec, s[0:1]
	s_cbranch_vccnz .LBB20_1970
; %bb.1964:
	v_mov_b32_e32 v3, 25
	v_cmp_gt_i16_sdwa s[0:1], v10, v3 src0_sel:BYTE_0 src1_sel:DWORD
	s_mov_b64 s[6:7], -1
	s_mov_b64 s[2:3], 0
	s_and_b64 vcc, exec, s[0:1]
	s_mov_b64 s[4:5], 0
	s_mov_b64 s[0:1], 0
	s_cbranch_vccz .LBB20_2006
; %bb.1965:
	v_mov_b32_e32 v3, 28
	v_cmp_gt_i16_sdwa s[0:1], v10, v3 src0_sel:BYTE_0 src1_sel:DWORD
	s_and_b64 vcc, exec, s[0:1]
	s_cbranch_vccz .LBB20_1971
; %bb.1966:
	v_mov_b32_e32 v3, 43
	v_cmp_gt_i16_sdwa s[0:1], v10, v3 src0_sel:BYTE_0 src1_sel:DWORD
	s_and_b64 vcc, exec, s[0:1]
	;; [unrolled: 5-line block ×3, first 2 shown]
	s_cbranch_vccz .LBB20_1978
; %bb.1968:
	v_mov_b32_e32 v3, 46
	v_cmp_eq_u16_sdwa s[4:5], v10, v3 src0_sel:BYTE_0 src1_sel:DWORD
	s_mov_b64 s[0:1], -1
	s_mov_b64 s[6:7], 0
	s_and_b64 vcc, exec, s[4:5]
	s_mov_b64 s[4:5], 0
	s_cbranch_vccz .LBB20_1979
; %bb.1969:
	v_bfe_u32 v3, v4, 16, 1
	s_movk_i32 s0, 0x7fff
	v_add3_u32 v3, v4, v3, s0
	v_lshrrev_b32_e32 v3, 16, v3
	v_mov_b32_e32 v5, 0x7fc0
	v_cmp_o_f32_e32 vcc, v4, v4
	v_cndmask_b32_e32 v3, v5, v3, vcc
	global_store_dword v[0:1], v3, off
	s_mov_b64 s[0:1], 0
	s_mov_b64 s[4:5], -1
	s_branch .LBB20_1979
.LBB20_1970:
	s_mov_b64 s[0:1], -1
	s_mov_b64 s[4:5], 0
	s_branch .LBB20_2050
.LBB20_1971:
	s_mov_b64 s[0:1], 0
	s_branch .LBB20_1989
.LBB20_1972:
	s_or_saveexec_b64 s[10:11], s[10:11]
                                        ; implicit-def: $sgpr13
	s_xor_b64 exec, exec, s[10:11]
	s_cbranch_execz .LBB20_1873
.LBB20_1973:
	s_mov_b32 s13, 0x46000000
	v_add_f32_e64 v3, |v2|, s13
	v_and_b32_e32 v3, 0xff, v3
	v_cmp_ne_u32_e32 vcc, 0, v3
	s_andn2_b64 s[6:7], s[6:7], exec
	s_and_b64 s[14:15], vcc, exec
	s_mov_b32 s13, 0
	s_or_b64 s[6:7], s[6:7], s[14:15]
	s_or_b64 exec, exec, s[10:11]
	v_mov_b32_e32 v7, s13
	s_and_saveexec_b64 s[10:11], s[6:7]
	s_cbranch_execnz .LBB20_1874
	s_branch .LBB20_1875
.LBB20_1974:
	s_mov_b64 s[0:1], 0
	s_branch .LBB20_1985
.LBB20_1975:
	s_trap 2
	s_or_b64 s[20:21], s[20:21], exec
	s_cbranch_execz .LBB20_1921
	s_branch .LBB20_1922
.LBB20_1976:
	s_or_saveexec_b64 s[6:7], s[6:7]
                                        ; implicit-def: $sgpr10
	s_xor_b64 exec, exec, s[6:7]
	s_cbranch_execz .LBB20_1886
.LBB20_1977:
	s_mov_b32 s10, 0x42800000
	v_add_f32_e64 v3, |v2|, s10
	v_and_b32_e32 v3, 0xff, v3
	v_cmp_ne_u32_e32 vcc, 0, v3
	s_andn2_b64 s[4:5], s[4:5], exec
	s_and_b64 s[14:15], vcc, exec
	s_mov_b32 s10, 0
	s_or_b64 s[4:5], s[4:5], s[14:15]
	s_or_b64 exec, exec, s[6:7]
	v_mov_b32_e32 v7, s10
	s_and_saveexec_b64 s[6:7], s[4:5]
	s_cbranch_execnz .LBB20_1887
	s_branch .LBB20_1888
.LBB20_1978:
	s_mov_b64 s[0:1], 0
.LBB20_1979:
	s_and_b64 vcc, exec, s[6:7]
	s_cbranch_vccz .LBB20_1984
; %bb.1980:
	v_mov_b32_e32 v3, 44
	v_cmp_eq_u16_sdwa s[6:7], v10, v3 src0_sel:BYTE_0 src1_sel:DWORD
	s_mov_b64 s[0:1], -1
	s_and_b64 vcc, exec, s[6:7]
	s_cbranch_vccz .LBB20_1984
; %bb.1981:
	v_bfe_u32 v3, v4, 23, 8
	s_movk_i32 s0, 0xff
	v_cmp_ne_u32_e32 vcc, s0, v3
	v_mov_b32_e32 v5, 0xff
	s_and_saveexec_b64 s[4:5], vcc
; %bb.1982:
	s_mov_b32 s0, 0x3fffff
	v_and_b32_e32 v7, 0x400000, v4
	v_and_or_b32 v3, v4, s0, v3
	v_cmp_ne_u32_e32 vcc, 0, v7
	v_cmp_ne_u32_e64 s[0:1], 0, v3
	s_and_b64 s[0:1], vcc, s[0:1]
	v_lshrrev_b32_e32 v5, 23, v4
	v_cndmask_b32_e64 v3, 0, 1, s[0:1]
	v_add_u32_e32 v5, v5, v3
; %bb.1983:
	s_or_b64 exec, exec, s[4:5]
	s_mov_b64 s[0:1], 0
	s_mov_b64 s[4:5], -1
	global_store_byte v[0:1], v5, off
.LBB20_1984:
	s_mov_b64 s[6:7], 0
.LBB20_1985:
	s_and_b64 vcc, exec, s[6:7]
	s_cbranch_vccz .LBB20_1988
; %bb.1986:
	v_mov_b32_e32 v3, 29
	v_cmp_eq_u16_sdwa s[6:7], v10, v3 src0_sel:BYTE_0 src1_sel:DWORD
	s_mov_b64 s[0:1], -1
	s_and_b64 vcc, exec, s[6:7]
	s_cbranch_vccz .LBB20_1988
; %bb.1987:
	v_trunc_f32_e32 v3, v4
	v_mul_f32_e32 v5, 0x2f800000, v3
	v_floor_f32_e32 v5, v5
	v_fmac_f32_e32 v3, 0xcf800000, v5
	v_cvt_u32_f32_e32 v9, v5
	v_cvt_u32_f32_e32 v8, v3
	s_mov_b64 s[0:1], 0
	s_mov_b64 s[4:5], -1
	s_mov_b64 s[6:7], 0
	global_store_dwordx2 v[0:1], v[8:9], off
	s_branch .LBB20_1989
.LBB20_1988:
	s_mov_b64 s[6:7], 0
.LBB20_1989:
	s_and_b64 vcc, exec, s[6:7]
	s_cbranch_vccz .LBB20_2005
; %bb.1990:
	v_mov_b32_e32 v3, 27
	v_cmp_lt_i16_sdwa s[6:7], v10, v3 src0_sel:BYTE_0 src1_sel:DWORD
	s_mov_b64 s[4:5], -1
	s_and_b64 vcc, exec, s[6:7]
	s_cbranch_vccnz .LBB20_1996
; %bb.1991:
	v_cmp_gt_i16_sdwa s[6:7], v10, v3 src0_sel:BYTE_0 src1_sel:DWORD
	v_cvt_u32_f32_e32 v3, v4
	s_and_b64 vcc, exec, s[6:7]
	s_cbranch_vccz .LBB20_1993
; %bb.1992:
	s_mov_b64 s[4:5], 0
	global_store_dword v[0:1], v3, off
.LBB20_1993:
	s_andn2_b64 vcc, exec, s[4:5]
	s_cbranch_vccnz .LBB20_1995
; %bb.1994:
	global_store_short v[0:1], v3, off
.LBB20_1995:
	s_mov_b64 s[4:5], 0
.LBB20_1996:
	s_andn2_b64 vcc, exec, s[4:5]
	s_cbranch_vccnz .LBB20_2004
; %bb.1997:
	v_and_b32_e32 v3, 0x7fffffff, v4
	s_mov_b32 s4, 0x43800000
	v_cmp_gt_u32_e32 vcc, s4, v3
	v_mov_b32_e32 v5, 0x80
	s_and_saveexec_b64 s[4:5], vcc
	s_cbranch_execz .LBB20_2003
; %bb.1998:
	s_mov_b32 s6, 0x3bffffff
	v_cmp_lt_u32_e32 vcc, s6, v3
	s_mov_b64 s[6:7], 0
                                        ; implicit-def: $vgpr3
	s_and_saveexec_b64 s[10:11], vcc
	s_xor_b64 s[10:11], exec, s[10:11]
	s_cbranch_execz .LBB20_2168
; %bb.1999:
	v_bfe_u32 v3, v4, 20, 1
	s_mov_b32 s13, 0x487ffff
	v_add3_u32 v3, v4, v3, s13
	s_mov_b64 s[6:7], exec
	v_lshrrev_b32_e32 v3, 20, v3
	s_or_saveexec_b64 s[10:11], s[10:11]
                                        ; implicit-def: $sgpr13
	s_xor_b64 exec, exec, s[10:11]
	s_cbranch_execnz .LBB20_2169
.LBB20_2000:
	s_or_b64 exec, exec, s[10:11]
	v_mov_b32_e32 v5, s13
	s_and_saveexec_b64 s[10:11], s[6:7]
.LBB20_2001:
	v_lshrrev_b32_e32 v5, 24, v4
	s_movk_i32 s6, 0x80
	v_and_or_b32 v5, v5, s6, v3
.LBB20_2002:
	s_or_b64 exec, exec, s[10:11]
.LBB20_2003:
	s_or_b64 exec, exec, s[4:5]
	global_store_byte v[0:1], v5, off
.LBB20_2004:
	s_mov_b64 s[4:5], -1
.LBB20_2005:
	s_mov_b64 s[6:7], 0
.LBB20_2006:
	s_and_b64 vcc, exec, s[6:7]
	s_cbranch_vccz .LBB20_2046
; %bb.2007:
	v_mov_b32_e32 v3, 22
	v_cmp_gt_i16_sdwa s[6:7], v10, v3 src0_sel:BYTE_0 src1_sel:DWORD
	s_mov_b64 s[2:3], -1
	s_and_b64 vcc, exec, s[6:7]
	s_cbranch_vccz .LBB20_2039
; %bb.2008:
	v_mov_b32_e32 v3, 24
	v_cmp_lt_i16_sdwa s[4:5], v10, v3 src0_sel:BYTE_0 src1_sel:DWORD
	s_and_b64 vcc, exec, s[4:5]
	s_cbranch_vccnz .LBB20_2028
; %bb.2009:
	v_cmp_gt_i16_sdwa s[4:5], v10, v3 src0_sel:BYTE_0 src1_sel:DWORD
	s_and_b64 vcc, exec, s[4:5]
	s_cbranch_vccz .LBB20_2017
; %bb.2010:
	v_and_b32_e32 v3, 0x7fffffff, v4
	s_mov_b32 s2, 0x47800000
	v_cmp_gt_u32_e32 vcc, s2, v3
	v_mov_b32_e32 v5, 0x80
	s_and_saveexec_b64 s[2:3], vcc
	s_cbranch_execz .LBB20_2016
; %bb.2011:
	s_mov_b32 s4, 0x37ffffff
	v_cmp_lt_u32_e32 vcc, s4, v3
	s_mov_b64 s[4:5], 0
                                        ; implicit-def: $vgpr3
	s_and_saveexec_b64 s[6:7], vcc
	s_xor_b64 s[6:7], exec, s[6:7]
	s_cbranch_execz .LBB20_2171
; %bb.2012:
	v_bfe_u32 v3, v4, 21, 1
	s_mov_b32 s10, 0x88fffff
	v_add3_u32 v3, v4, v3, s10
	s_mov_b64 s[4:5], exec
	v_lshrrev_b32_e32 v3, 21, v3
	s_or_saveexec_b64 s[6:7], s[6:7]
                                        ; implicit-def: $sgpr10
	s_xor_b64 exec, exec, s[6:7]
	s_cbranch_execnz .LBB20_2172
.LBB20_2013:
	s_or_b64 exec, exec, s[6:7]
	v_mov_b32_e32 v5, s10
	s_and_saveexec_b64 s[6:7], s[4:5]
.LBB20_2014:
	v_lshrrev_b32_e32 v5, 24, v4
	s_movk_i32 s4, 0x80
	v_and_or_b32 v5, v5, s4, v3
.LBB20_2015:
	s_or_b64 exec, exec, s[6:7]
.LBB20_2016:
	s_or_b64 exec, exec, s[2:3]
	s_mov_b64 s[2:3], 0
	global_store_byte v[0:1], v5, off
.LBB20_2017:
	s_and_b64 vcc, exec, s[2:3]
	s_cbranch_vccz .LBB20_2027
; %bb.2018:
	v_and_b32_e32 v5, 0x7fffffff, v4
	s_mov_b32 s2, 0x43f00000
	v_cmp_gt_u32_e32 vcc, s2, v5
                                        ; implicit-def: $vgpr3
	s_and_saveexec_b64 s[2:3], vcc
	s_xor_b64 s[2:3], exec, s[2:3]
	s_cbranch_execz .LBB20_2024
; %bb.2019:
	s_mov_b32 s4, 0x3c7fffff
	v_cmp_lt_u32_e32 vcc, s4, v5
                                        ; implicit-def: $vgpr3
	s_and_saveexec_b64 s[4:5], vcc
	s_xor_b64 s[4:5], exec, s[4:5]
; %bb.2020:
	v_bfe_u32 v3, v4, 20, 1
	s_mov_b32 s6, 0x407ffff
	v_add3_u32 v3, v4, v3, s6
	v_lshrrev_b32_e32 v5, 20, v3
	v_and_b32_e32 v3, 0xff00000, v3
	s_mov_b32 s6, 0x7f00000
	v_mov_b32_e32 v7, 0x7e
	v_cmp_ne_u32_e32 vcc, s6, v3
	v_cndmask_b32_e32 v3, v7, v5, vcc
; %bb.2021:
	s_andn2_saveexec_b64 s[4:5], s[4:5]
; %bb.2022:
	s_mov_b32 s6, 0x46800000
	v_add_f32_e64 v3, |v4|, s6
; %bb.2023:
	s_or_b64 exec, exec, s[4:5]
                                        ; implicit-def: $vgpr5
.LBB20_2024:
	s_andn2_saveexec_b64 s[2:3], s[2:3]
; %bb.2025:
	s_mov_b32 s4, 0x7f800000
	v_mov_b32_e32 v3, 0x7e
	v_mov_b32_e32 v7, 0x7f
	v_cmp_lt_u32_e32 vcc, s4, v5
	v_cndmask_b32_e32 v3, v3, v7, vcc
; %bb.2026:
	s_or_b64 exec, exec, s[2:3]
	v_lshrrev_b32_e32 v5, 24, v4
	s_movk_i32 s2, 0x80
	v_and_or_b32 v3, v5, s2, v3
	global_store_byte v[0:1], v3, off
.LBB20_2027:
	s_mov_b64 s[2:3], 0
.LBB20_2028:
	s_andn2_b64 vcc, exec, s[2:3]
	s_cbranch_vccnz .LBB20_2038
; %bb.2029:
	v_and_b32_e32 v5, 0x7fffffff, v4
	s_mov_b32 s2, 0x47800000
	v_cmp_gt_u32_e32 vcc, s2, v5
                                        ; implicit-def: $vgpr3
	s_and_saveexec_b64 s[2:3], vcc
	s_xor_b64 s[2:3], exec, s[2:3]
	s_cbranch_execz .LBB20_2035
; %bb.2030:
	s_mov_b32 s4, 0x387fffff
	v_cmp_lt_u32_e32 vcc, s4, v5
                                        ; implicit-def: $vgpr3
	s_and_saveexec_b64 s[4:5], vcc
	s_xor_b64 s[4:5], exec, s[4:5]
; %bb.2031:
	v_bfe_u32 v3, v4, 21, 1
	s_mov_b32 s6, 0x80fffff
	v_add3_u32 v3, v4, v3, s6
	v_lshrrev_b32_e32 v3, 21, v3
; %bb.2032:
	s_andn2_saveexec_b64 s[4:5], s[4:5]
; %bb.2033:
	s_mov_b32 s6, 0x43000000
	v_add_f32_e64 v3, |v4|, s6
; %bb.2034:
	s_or_b64 exec, exec, s[4:5]
                                        ; implicit-def: $vgpr5
.LBB20_2035:
	s_andn2_saveexec_b64 s[2:3], s[2:3]
; %bb.2036:
	s_mov_b32 s4, 0x7f800000
	v_mov_b32_e32 v3, 0x7c
	v_mov_b32_e32 v7, 0x7f
	v_cmp_lt_u32_e32 vcc, s4, v5
	v_cndmask_b32_e32 v3, v3, v7, vcc
; %bb.2037:
	s_or_b64 exec, exec, s[2:3]
	v_lshrrev_b32_e32 v5, 24, v4
	s_movk_i32 s2, 0x80
	v_and_or_b32 v3, v5, s2, v3
	global_store_byte v[0:1], v3, off
.LBB20_2038:
	s_mov_b64 s[2:3], 0
	s_mov_b64 s[4:5], -1
.LBB20_2039:
	s_andn2_b64 vcc, exec, s[2:3]
	s_mov_b64 s[2:3], 0
	s_cbranch_vccnz .LBB20_2046
; %bb.2040:
	v_mov_b32_e32 v3, 14
	v_cmp_gt_i16_sdwa s[2:3], v10, v3 src0_sel:BYTE_0 src1_sel:DWORD
	s_mov_b64 s[6:7], -1
	s_and_b64 vcc, exec, s[2:3]
	s_cbranch_vccz .LBB20_2044
; %bb.2041:
	v_mov_b32_e32 v3, 15
	v_cmp_eq_u16_sdwa s[2:3], v10, v3 src0_sel:BYTE_0 src1_sel:DWORD
	s_mov_b64 s[0:1], -1
	s_and_b64 vcc, exec, s[2:3]
	s_cbranch_vccz .LBB20_2043
; %bb.2042:
	v_bfe_u32 v3, v4, 16, 1
	s_movk_i32 s0, 0x7fff
	v_add3_u32 v3, v4, v3, s0
	v_lshrrev_b32_e32 v3, 16, v3
	v_mov_b32_e32 v5, 0x7fc0
	v_cmp_o_f32_e32 vcc, v4, v4
	v_cndmask_b32_e32 v3, v5, v3, vcc
	global_store_short v[0:1], v3, off
	s_mov_b64 s[0:1], 0
	s_mov_b64 s[4:5], -1
.LBB20_2043:
	s_mov_b64 s[6:7], 0
.LBB20_2044:
	s_mov_b64 s[2:3], 0
	s_and_b64 vcc, exec, s[6:7]
	s_cbranch_vccz .LBB20_2046
; %bb.2045:
	v_mov_b32_e32 v3, 11
	v_cmp_ne_u16_sdwa s[0:1], v10, v3 src0_sel:BYTE_0 src1_sel:DWORD
	s_mov_b64 s[2:3], -1
.LBB20_2046:
	s_and_b64 vcc, exec, s[0:1]
	s_cbranch_vccnz .LBB20_2170
; %bb.2047:
	s_andn2_b64 vcc, exec, s[2:3]
	s_cbranch_vccnz .LBB20_2049
.LBB20_2048:
	v_cmp_neq_f32_e32 vcc, 0, v4
	v_cndmask_b32_e64 v3, 0, 1, vcc
	s_mov_b64 s[4:5], -1
	global_store_byte v[0:1], v3, off
.LBB20_2049:
	s_mov_b64 s[0:1], 0
.LBB20_2050:
	s_and_b64 vcc, exec, s[0:1]
	s_cbranch_vccz .LBB20_2089
; %bb.2051:
	v_mov_b32_e32 v3, 5
	v_cmp_lt_i16_sdwa s[2:3], v10, v3 src0_sel:BYTE_0 src1_sel:DWORD
	s_mov_b64 s[0:1], -1
	s_and_b64 vcc, exec, s[2:3]
	s_cbranch_vccnz .LBB20_2072
; %bb.2052:
	v_mov_b32_e32 v3, 8
	v_cmp_lt_i16_sdwa s[2:3], v10, v3 src0_sel:BYTE_0 src1_sel:DWORD
	s_and_b64 vcc, exec, s[2:3]
	s_cbranch_vccnz .LBB20_2062
; %bb.2053:
	v_mov_b32_e32 v3, 9
	v_cmp_lt_i16_sdwa s[2:3], v10, v3 src0_sel:BYTE_0 src1_sel:DWORD
	s_and_b64 vcc, exec, s[2:3]
	s_cbranch_vccnz .LBB20_2059
; %bb.2054:
	v_cmp_gt_i16_sdwa s[2:3], v10, v3 src0_sel:BYTE_0 src1_sel:DWORD
	s_and_b64 vcc, exec, s[2:3]
	s_cbranch_vccz .LBB20_2056
; %bb.2055:
	v_mov_b32_e32 v14, 0
	v_cvt_f64_f32_e32 v[12:13], v4
	v_mov_b32_e32 v15, v14
	global_store_dwordx4 v[0:1], v[12:15], off
	s_mov_b64 s[0:1], 0
.LBB20_2056:
	s_andn2_b64 vcc, exec, s[0:1]
	s_cbranch_vccnz .LBB20_2058
; %bb.2057:
	v_mov_b32_e32 v5, 0
	global_store_dwordx2 v[0:1], v[4:5], off
.LBB20_2058:
	s_mov_b64 s[0:1], 0
.LBB20_2059:
	s_andn2_b64 vcc, exec, s[0:1]
	s_cbranch_vccnz .LBB20_2061
; %bb.2060:
	v_cvt_f16_f32_e32 v3, v4
	global_store_dword v[0:1], v3, off
.LBB20_2061:
	s_mov_b64 s[0:1], 0
.LBB20_2062:
	s_andn2_b64 vcc, exec, s[0:1]
	s_cbranch_vccnz .LBB20_2071
; %bb.2063:
	v_mov_b32_e32 v3, 6
	v_cmp_lt_i16_sdwa s[2:3], v10, v3 src0_sel:BYTE_0 src1_sel:DWORD
	s_mov_b64 s[0:1], -1
	s_and_b64 vcc, exec, s[2:3]
	s_cbranch_vccnz .LBB20_2069
; %bb.2064:
	v_cmp_gt_i16_sdwa s[2:3], v10, v3 src0_sel:BYTE_0 src1_sel:DWORD
	s_and_b64 vcc, exec, s[2:3]
	s_cbranch_vccz .LBB20_2066
; %bb.2065:
	v_cvt_f64_f32_e32 v[8:9], v4
	global_store_dwordx2 v[0:1], v[8:9], off
	s_mov_b64 s[0:1], 0
.LBB20_2066:
	s_andn2_b64 vcc, exec, s[0:1]
	s_cbranch_vccnz .LBB20_2068
; %bb.2067:
	global_store_dword v[0:1], v4, off
.LBB20_2068:
	s_mov_b64 s[0:1], 0
.LBB20_2069:
	s_andn2_b64 vcc, exec, s[0:1]
	s_cbranch_vccnz .LBB20_2071
; %bb.2070:
	v_cvt_f16_f32_e32 v3, v4
	global_store_short v[0:1], v3, off
.LBB20_2071:
	s_mov_b64 s[0:1], 0
.LBB20_2072:
	s_andn2_b64 vcc, exec, s[0:1]
	s_cbranch_vccnz .LBB20_2088
; %bb.2073:
	v_mov_b32_e32 v3, 2
	v_cmp_lt_i16_sdwa s[2:3], v10, v3 src0_sel:BYTE_0 src1_sel:DWORD
	s_mov_b64 s[0:1], -1
	s_and_b64 vcc, exec, s[2:3]
	s_cbranch_vccnz .LBB20_2083
; %bb.2074:
	v_mov_b32_e32 v3, 3
	v_cmp_lt_i16_sdwa s[2:3], v10, v3 src0_sel:BYTE_0 src1_sel:DWORD
	s_and_b64 vcc, exec, s[2:3]
	s_cbranch_vccnz .LBB20_2080
; %bb.2075:
	v_cmp_gt_i16_sdwa s[2:3], v10, v3 src0_sel:BYTE_0 src1_sel:DWORD
	s_and_b64 vcc, exec, s[2:3]
	s_cbranch_vccz .LBB20_2077
; %bb.2076:
	v_trunc_f32_e32 v3, v4
	s_mov_b32 s0, 0x2f800000
	v_mul_f32_e64 v5, |v3|, s0
	v_floor_f32_e32 v5, v5
	s_mov_b32 s0, 0xcf800000
	v_cvt_u32_f32_e32 v7, v5
	v_fma_f32 v5, v5, s0, |v3|
	v_cvt_u32_f32_e32 v5, v5
	v_ashrrev_i32_e32 v3, 31, v3
	v_xor_b32_e32 v7, v7, v3
	s_mov_b64 s[0:1], 0
	v_xor_b32_e32 v5, v5, v3
	v_sub_co_u32_e32 v8, vcc, v5, v3
	v_subb_co_u32_e32 v9, vcc, v7, v3, vcc
	global_store_dwordx2 v[0:1], v[8:9], off
.LBB20_2077:
	s_andn2_b64 vcc, exec, s[0:1]
	s_cbranch_vccnz .LBB20_2079
; %bb.2078:
	v_cvt_i32_f32_e32 v3, v4
	global_store_dword v[0:1], v3, off
.LBB20_2079:
	s_mov_b64 s[0:1], 0
.LBB20_2080:
	s_andn2_b64 vcc, exec, s[0:1]
	s_cbranch_vccnz .LBB20_2082
; %bb.2081:
	v_cvt_i32_f32_e32 v3, v4
	global_store_short v[0:1], v3, off
.LBB20_2082:
	s_mov_b64 s[0:1], 0
.LBB20_2083:
	s_andn2_b64 vcc, exec, s[0:1]
	s_cbranch_vccnz .LBB20_2088
; %bb.2084:
	v_mov_b32_e32 v3, 0
	v_cmp_gt_i16_sdwa s[2:3], v10, v3 src0_sel:BYTE_0 src1_sel:DWORD
	s_mov_b64 s[0:1], -1
	s_and_b64 vcc, exec, s[2:3]
	s_cbranch_vccz .LBB20_2086
; %bb.2085:
	v_cvt_i32_f32_e32 v3, v4
	s_mov_b64 s[0:1], 0
	global_store_byte v[0:1], v3, off
.LBB20_2086:
	s_andn2_b64 vcc, exec, s[0:1]
	s_cbranch_vccnz .LBB20_2088
; %bb.2087:
	v_trunc_f32_e32 v3, v4
	s_mov_b32 s0, 0x2f800000
	v_mul_f32_e64 v4, |v3|, s0
	v_floor_f32_e32 v4, v4
	s_mov_b32 s0, 0xcf800000
	v_fma_f32 v4, v4, s0, |v3|
	v_cvt_u32_f32_e32 v4, v4
	v_ashrrev_i32_e32 v3, 31, v3
	v_xor_b32_e32 v4, v4, v3
	v_sub_u32_e32 v3, v4, v3
	global_store_byte v[0:1], v3, off
.LBB20_2088:
	s_mov_b64 s[4:5], -1
.LBB20_2089:
	s_andn2_b64 vcc, exec, s[4:5]
	s_cbranch_vccnz .LBB20_2166
; %bb.2090:
	v_add_u32_e32 v0, s12, v2
	v_ashrrev_i32_e32 v1, 31, v0
	v_mov_b32_e32 v2, s9
	v_add_co_u32_e32 v0, vcc, s8, v0
	v_addc_co_u32_e32 v1, vcc, v2, v1, vcc
	v_and_b32_e32 v2, 0xff, v10
	v_cmp_gt_i16_e32 vcc, 11, v2
	s_cbranch_vccnz .LBB20_2167
; %bb.2091:
	v_cmp_lt_i16_e32 vcc, 25, v2
	s_mov_b64 s[4:5], -1
	s_mov_b64 s[2:3], 0
	s_mov_b64 s[0:1], 0
	s_cbranch_vccz .LBB20_2124
; %bb.2092:
	v_cmp_lt_i16_e32 vcc, 28, v2
	s_cbranch_vccz .LBB20_2108
; %bb.2093:
	v_cmp_lt_i16_e32 vcc, 43, v2
	;; [unrolled: 3-line block ×3, first 2 shown]
	s_cbranch_vccz .LBB20_2098
; %bb.2095:
	v_cmp_eq_u16_e32 vcc, 46, v2
	s_mov_b64 s[0:1], -1
	s_cbranch_vccz .LBB20_2097
; %bb.2096:
	v_bfe_u32 v3, v6, 16, 1
	s_movk_i32 s0, 0x7fff
	v_add3_u32 v3, v6, v3, s0
	v_lshrrev_b32_e32 v3, 16, v3
	v_mov_b32_e32 v4, 0x7fc0
	v_cmp_o_f32_e32 vcc, v6, v6
	v_cndmask_b32_e32 v3, v4, v3, vcc
	global_store_dword v[0:1], v3, off
	s_mov_b64 s[0:1], 0
.LBB20_2097:
	s_mov_b64 s[4:5], 0
.LBB20_2098:
	s_and_b64 vcc, exec, s[4:5]
	s_cbranch_vccz .LBB20_2103
; %bb.2099:
	v_cmp_eq_u16_e32 vcc, 44, v2
	s_mov_b64 s[0:1], -1
	s_cbranch_vccz .LBB20_2103
; %bb.2100:
	v_bfe_u32 v3, v6, 23, 8
	s_movk_i32 s0, 0xff
	v_cmp_ne_u32_e32 vcc, s0, v3
	v_mov_b32_e32 v4, 0xff
	s_and_saveexec_b64 s[4:5], vcc
; %bb.2101:
	s_mov_b32 s0, 0x3fffff
	v_and_b32_e32 v5, 0x400000, v6
	v_and_or_b32 v3, v6, s0, v3
	v_cmp_ne_u32_e32 vcc, 0, v5
	v_cmp_ne_u32_e64 s[0:1], 0, v3
	s_and_b64 s[0:1], vcc, s[0:1]
	v_lshrrev_b32_e32 v4, 23, v6
	v_cndmask_b32_e64 v3, 0, 1, s[0:1]
	v_add_u32_e32 v4, v4, v3
; %bb.2102:
	s_or_b64 exec, exec, s[4:5]
	s_mov_b64 s[0:1], 0
	global_store_byte v[0:1], v4, off
.LBB20_2103:
	s_mov_b64 s[4:5], 0
.LBB20_2104:
	s_and_b64 vcc, exec, s[4:5]
	s_cbranch_vccz .LBB20_2107
; %bb.2105:
	v_cmp_eq_u16_e32 vcc, 29, v2
	s_mov_b64 s[0:1], -1
	s_cbranch_vccz .LBB20_2107
; %bb.2106:
	v_trunc_f32_e32 v3, v6
	v_mul_f32_e32 v4, 0x2f800000, v3
	v_floor_f32_e32 v4, v4
	v_fmac_f32_e32 v3, 0xcf800000, v4
	v_cvt_u32_f32_e32 v5, v4
	v_cvt_u32_f32_e32 v4, v3
	s_mov_b64 s[0:1], 0
	global_store_dwordx2 v[0:1], v[4:5], off
.LBB20_2107:
	s_mov_b64 s[4:5], 0
.LBB20_2108:
	s_and_b64 vcc, exec, s[4:5]
	s_cbranch_vccz .LBB20_2123
; %bb.2109:
	v_cmp_gt_i16_e32 vcc, 27, v2
	s_mov_b64 s[4:5], -1
	s_cbranch_vccnz .LBB20_2115
; %bb.2110:
	v_cvt_u32_f32_e32 v3, v6
	v_cmp_lt_i16_e32 vcc, 27, v2
	s_cbranch_vccz .LBB20_2112
; %bb.2111:
	global_store_dword v[0:1], v3, off
	s_mov_b64 s[4:5], 0
.LBB20_2112:
	s_andn2_b64 vcc, exec, s[4:5]
	s_cbranch_vccnz .LBB20_2114
; %bb.2113:
	global_store_short v[0:1], v3, off
.LBB20_2114:
	s_mov_b64 s[4:5], 0
.LBB20_2115:
	s_andn2_b64 vcc, exec, s[4:5]
	s_cbranch_vccnz .LBB20_2123
; %bb.2116:
	v_and_b32_e32 v3, 0x7fffffff, v6
	s_mov_b32 s4, 0x43800000
	v_cmp_gt_u32_e32 vcc, s4, v3
	v_mov_b32_e32 v4, 0x80
	s_and_saveexec_b64 s[4:5], vcc
	s_cbranch_execz .LBB20_2122
; %bb.2117:
	s_mov_b32 s6, 0x3bffffff
	v_cmp_lt_u32_e32 vcc, s6, v3
	s_mov_b64 s[6:7], 0
                                        ; implicit-def: $vgpr3
	s_and_saveexec_b64 s[8:9], vcc
	s_xor_b64 s[8:9], exec, s[8:9]
	s_cbranch_execz .LBB20_2173
; %bb.2118:
	v_bfe_u32 v3, v6, 20, 1
	s_mov_b32 s10, 0x487ffff
	v_add3_u32 v3, v6, v3, s10
	s_mov_b64 s[6:7], exec
	v_lshrrev_b32_e32 v3, 20, v3
	s_or_saveexec_b64 s[8:9], s[8:9]
                                        ; implicit-def: $sgpr10
	s_xor_b64 exec, exec, s[8:9]
	s_cbranch_execnz .LBB20_2174
.LBB20_2119:
	s_or_b64 exec, exec, s[8:9]
	v_mov_b32_e32 v4, s10
	s_and_saveexec_b64 s[8:9], s[6:7]
.LBB20_2120:
	v_lshrrev_b32_e32 v4, 24, v6
	s_movk_i32 s6, 0x80
	v_and_or_b32 v4, v4, s6, v3
.LBB20_2121:
	s_or_b64 exec, exec, s[8:9]
.LBB20_2122:
	s_or_b64 exec, exec, s[4:5]
	global_store_byte v[0:1], v4, off
.LBB20_2123:
	s_mov_b64 s[4:5], 0
.LBB20_2124:
	s_and_b64 vcc, exec, s[4:5]
	s_cbranch_vccz .LBB20_2164
; %bb.2125:
	v_cmp_lt_i16_e32 vcc, 22, v2
	s_mov_b64 s[2:3], -1
	s_cbranch_vccz .LBB20_2157
; %bb.2126:
	v_cmp_gt_i16_e32 vcc, 24, v2
	s_cbranch_vccnz .LBB20_2146
; %bb.2127:
	v_cmp_lt_i16_e32 vcc, 24, v2
	s_cbranch_vccz .LBB20_2135
; %bb.2128:
	v_and_b32_e32 v3, 0x7fffffff, v6
	s_mov_b32 s2, 0x47800000
	v_cmp_gt_u32_e32 vcc, s2, v3
	v_mov_b32_e32 v4, 0x80
	s_and_saveexec_b64 s[2:3], vcc
	s_cbranch_execz .LBB20_2134
; %bb.2129:
	s_mov_b32 s4, 0x37ffffff
	v_cmp_lt_u32_e32 vcc, s4, v3
	s_mov_b64 s[4:5], 0
                                        ; implicit-def: $vgpr3
	s_and_saveexec_b64 s[6:7], vcc
	s_xor_b64 s[6:7], exec, s[6:7]
	s_cbranch_execz .LBB20_2176
; %bb.2130:
	v_bfe_u32 v3, v6, 21, 1
	s_mov_b32 s8, 0x88fffff
	v_add3_u32 v3, v6, v3, s8
	s_mov_b64 s[4:5], exec
	v_lshrrev_b32_e32 v3, 21, v3
	s_or_saveexec_b64 s[6:7], s[6:7]
                                        ; implicit-def: $sgpr8
	s_xor_b64 exec, exec, s[6:7]
	s_cbranch_execnz .LBB20_2177
.LBB20_2131:
	s_or_b64 exec, exec, s[6:7]
	v_mov_b32_e32 v4, s8
	s_and_saveexec_b64 s[6:7], s[4:5]
.LBB20_2132:
	v_lshrrev_b32_e32 v4, 24, v6
	s_movk_i32 s4, 0x80
	v_and_or_b32 v4, v4, s4, v3
.LBB20_2133:
	s_or_b64 exec, exec, s[6:7]
.LBB20_2134:
	s_or_b64 exec, exec, s[2:3]
	s_mov_b64 s[2:3], 0
	global_store_byte v[0:1], v4, off
.LBB20_2135:
	s_and_b64 vcc, exec, s[2:3]
	s_cbranch_vccz .LBB20_2145
; %bb.2136:
	v_and_b32_e32 v4, 0x7fffffff, v6
	s_mov_b32 s2, 0x43f00000
	v_cmp_gt_u32_e32 vcc, s2, v4
                                        ; implicit-def: $vgpr3
	s_and_saveexec_b64 s[2:3], vcc
	s_xor_b64 s[2:3], exec, s[2:3]
	s_cbranch_execz .LBB20_2142
; %bb.2137:
	s_mov_b32 s4, 0x3c7fffff
	v_cmp_lt_u32_e32 vcc, s4, v4
                                        ; implicit-def: $vgpr3
	s_and_saveexec_b64 s[4:5], vcc
	s_xor_b64 s[4:5], exec, s[4:5]
; %bb.2138:
	v_bfe_u32 v3, v6, 20, 1
	s_mov_b32 s6, 0x407ffff
	v_add3_u32 v3, v6, v3, s6
	v_lshrrev_b32_e32 v4, 20, v3
	v_and_b32_e32 v3, 0xff00000, v3
	s_mov_b32 s6, 0x7f00000
	v_mov_b32_e32 v5, 0x7e
	v_cmp_ne_u32_e32 vcc, s6, v3
	v_cndmask_b32_e32 v3, v5, v4, vcc
; %bb.2139:
	s_andn2_saveexec_b64 s[4:5], s[4:5]
; %bb.2140:
	s_mov_b32 s6, 0x46800000
	v_add_f32_e64 v3, |v6|, s6
; %bb.2141:
	s_or_b64 exec, exec, s[4:5]
                                        ; implicit-def: $vgpr4
.LBB20_2142:
	s_andn2_saveexec_b64 s[2:3], s[2:3]
; %bb.2143:
	s_mov_b32 s4, 0x7f800000
	v_mov_b32_e32 v3, 0x7e
	v_mov_b32_e32 v5, 0x7f
	v_cmp_lt_u32_e32 vcc, s4, v4
	v_cndmask_b32_e32 v3, v3, v5, vcc
; %bb.2144:
	s_or_b64 exec, exec, s[2:3]
	v_lshrrev_b32_e32 v4, 24, v6
	s_movk_i32 s2, 0x80
	v_and_or_b32 v3, v4, s2, v3
	global_store_byte v[0:1], v3, off
.LBB20_2145:
	s_mov_b64 s[2:3], 0
.LBB20_2146:
	s_andn2_b64 vcc, exec, s[2:3]
	s_cbranch_vccnz .LBB20_2156
; %bb.2147:
	v_and_b32_e32 v4, 0x7fffffff, v6
	s_mov_b32 s2, 0x47800000
	v_cmp_gt_u32_e32 vcc, s2, v4
                                        ; implicit-def: $vgpr3
	s_and_saveexec_b64 s[2:3], vcc
	s_xor_b64 s[2:3], exec, s[2:3]
	s_cbranch_execz .LBB20_2153
; %bb.2148:
	s_mov_b32 s4, 0x387fffff
	v_cmp_lt_u32_e32 vcc, s4, v4
                                        ; implicit-def: $vgpr3
	s_and_saveexec_b64 s[4:5], vcc
	s_xor_b64 s[4:5], exec, s[4:5]
; %bb.2149:
	v_bfe_u32 v3, v6, 21, 1
	s_mov_b32 s6, 0x80fffff
	v_add3_u32 v3, v6, v3, s6
	v_lshrrev_b32_e32 v3, 21, v3
; %bb.2150:
	s_andn2_saveexec_b64 s[4:5], s[4:5]
; %bb.2151:
	s_mov_b32 s6, 0x43000000
	v_add_f32_e64 v3, |v6|, s6
; %bb.2152:
	s_or_b64 exec, exec, s[4:5]
                                        ; implicit-def: $vgpr4
.LBB20_2153:
	s_andn2_saveexec_b64 s[2:3], s[2:3]
; %bb.2154:
	s_mov_b32 s4, 0x7f800000
	v_mov_b32_e32 v3, 0x7c
	v_mov_b32_e32 v5, 0x7f
	v_cmp_lt_u32_e32 vcc, s4, v4
	v_cndmask_b32_e32 v3, v3, v5, vcc
; %bb.2155:
	s_or_b64 exec, exec, s[2:3]
	v_lshrrev_b32_e32 v4, 24, v6
	s_movk_i32 s2, 0x80
	v_and_or_b32 v3, v4, s2, v3
	global_store_byte v[0:1], v3, off
.LBB20_2156:
	s_mov_b64 s[2:3], 0
.LBB20_2157:
	s_andn2_b64 vcc, exec, s[2:3]
	s_mov_b64 s[2:3], 0
	s_cbranch_vccnz .LBB20_2164
; %bb.2158:
	v_cmp_lt_i16_e32 vcc, 14, v2
	s_mov_b64 s[4:5], -1
	s_cbranch_vccz .LBB20_2162
; %bb.2159:
	v_cmp_eq_u16_e32 vcc, 15, v2
	s_mov_b64 s[0:1], -1
	s_cbranch_vccz .LBB20_2161
; %bb.2160:
	v_bfe_u32 v3, v6, 16, 1
	s_movk_i32 s0, 0x7fff
	v_add3_u32 v3, v6, v3, s0
	v_lshrrev_b32_e32 v3, 16, v3
	v_mov_b32_e32 v4, 0x7fc0
	v_cmp_o_f32_e32 vcc, v6, v6
	v_cndmask_b32_e32 v3, v4, v3, vcc
	global_store_short v[0:1], v3, off
	s_mov_b64 s[0:1], 0
.LBB20_2161:
	s_mov_b64 s[4:5], 0
.LBB20_2162:
	s_and_b64 vcc, exec, s[4:5]
	s_cbranch_vccz .LBB20_2164
; %bb.2163:
	v_cmp_ne_u16_e64 s[0:1], 11, v2
	s_mov_b64 s[2:3], -1
.LBB20_2164:
	s_and_b64 vcc, exec, s[0:1]
	s_cbranch_vccnz .LBB20_2175
.LBB20_2165:
	s_mov_b64 s[0:1], 0
	s_branch .LBB20_1662
.LBB20_2166:
	s_mov_b64 s[0:1], 0
                                        ; implicit-def: $vgpr2
                                        ; implicit-def: $vgpr0_vgpr1
	s_branch .LBB20_1661
.LBB20_2167:
	s_mov_b64 s[2:3], 0
	s_mov_b64 s[0:1], -1
	s_branch .LBB20_1662
.LBB20_2168:
	s_or_saveexec_b64 s[10:11], s[10:11]
                                        ; implicit-def: $sgpr13
	s_xor_b64 exec, exec, s[10:11]
	s_cbranch_execz .LBB20_2000
.LBB20_2169:
	s_mov_b32 s13, 0x46000000
	v_add_f32_e64 v3, |v4|, s13
	v_and_b32_e32 v3, 0xff, v3
	v_cmp_ne_u32_e32 vcc, 0, v3
	s_andn2_b64 s[6:7], s[6:7], exec
	s_and_b64 s[14:15], vcc, exec
	s_mov_b32 s13, 0
	s_or_b64 s[6:7], s[6:7], s[14:15]
	s_or_b64 exec, exec, s[10:11]
	v_mov_b32_e32 v5, s13
	s_and_saveexec_b64 s[10:11], s[6:7]
	s_cbranch_execnz .LBB20_2001
	s_branch .LBB20_2002
.LBB20_2170:
	s_trap 2
	s_or_b64 s[20:21], s[20:21], exec
	s_cbranch_execz .LBB20_2048
	s_branch .LBB20_2049
.LBB20_2171:
	s_or_saveexec_b64 s[6:7], s[6:7]
                                        ; implicit-def: $sgpr10
	s_xor_b64 exec, exec, s[6:7]
	s_cbranch_execz .LBB20_2013
.LBB20_2172:
	s_mov_b32 s10, 0x42800000
	v_add_f32_e64 v3, |v4|, s10
	v_and_b32_e32 v3, 0xff, v3
	v_cmp_ne_u32_e32 vcc, 0, v3
	s_andn2_b64 s[4:5], s[4:5], exec
	s_and_b64 s[14:15], vcc, exec
	s_mov_b32 s10, 0
	s_or_b64 s[4:5], s[4:5], s[14:15]
	s_or_b64 exec, exec, s[6:7]
	v_mov_b32_e32 v5, s10
	s_and_saveexec_b64 s[6:7], s[4:5]
	s_cbranch_execnz .LBB20_2014
	s_branch .LBB20_2015
.LBB20_2173:
	s_or_saveexec_b64 s[8:9], s[8:9]
                                        ; implicit-def: $sgpr10
	s_xor_b64 exec, exec, s[8:9]
	s_cbranch_execz .LBB20_2119
.LBB20_2174:
	s_mov_b32 s10, 0x46000000
	v_add_f32_e64 v3, |v6|, s10
	v_and_b32_e32 v3, 0xff, v3
	v_cmp_ne_u32_e32 vcc, 0, v3
	s_andn2_b64 s[6:7], s[6:7], exec
	s_and_b64 s[12:13], vcc, exec
	s_mov_b32 s10, 0
	s_or_b64 s[6:7], s[6:7], s[12:13]
	s_or_b64 exec, exec, s[8:9]
	v_mov_b32_e32 v4, s10
	s_and_saveexec_b64 s[8:9], s[6:7]
	s_cbranch_execnz .LBB20_2120
	s_branch .LBB20_2121
.LBB20_2175:
	s_mov_b64 s[2:3], 0
	s_or_b64 s[20:21], s[20:21], exec
	s_trap 2
	s_branch .LBB20_2165
.LBB20_2176:
	s_or_saveexec_b64 s[6:7], s[6:7]
                                        ; implicit-def: $sgpr8
	s_xor_b64 exec, exec, s[6:7]
	s_cbranch_execz .LBB20_2131
.LBB20_2177:
	s_mov_b32 s8, 0x42800000
	v_add_f32_e64 v3, |v6|, s8
	v_and_b32_e32 v3, 0xff, v3
	v_cmp_ne_u32_e32 vcc, 0, v3
	s_andn2_b64 s[4:5], s[4:5], exec
	s_and_b64 s[10:11], vcc, exec
	s_mov_b32 s8, 0
	s_or_b64 s[4:5], s[4:5], s[10:11]
	s_or_b64 exec, exec, s[6:7]
	v_mov_b32_e32 v4, s8
	s_and_saveexec_b64 s[6:7], s[4:5]
	s_cbranch_execnz .LBB20_2132
	s_branch .LBB20_2133
	.section	.rodata,"a",@progbits
	.p2align	6, 0x0
	.amdhsa_kernel _ZN2at6native32elementwise_kernel_manual_unrollILi128ELi4EZNS0_15gpu_kernel_implIZZZNS0_12_GLOBAL__N_121bessel_j0_kernel_cudaERNS_18TensorIteratorBaseEENKUlvE_clEvENKUlvE0_clEvEUlfE_EEvS5_RKT_EUlibE_EEviT1_
		.amdhsa_group_segment_fixed_size 0
		.amdhsa_private_segment_fixed_size 0
		.amdhsa_kernarg_size 40
		.amdhsa_user_sgpr_count 6
		.amdhsa_user_sgpr_private_segment_buffer 1
		.amdhsa_user_sgpr_dispatch_ptr 0
		.amdhsa_user_sgpr_queue_ptr 0
		.amdhsa_user_sgpr_kernarg_segment_ptr 1
		.amdhsa_user_sgpr_dispatch_id 0
		.amdhsa_user_sgpr_flat_scratch_init 0
		.amdhsa_user_sgpr_kernarg_preload_length 0
		.amdhsa_user_sgpr_kernarg_preload_offset 0
		.amdhsa_user_sgpr_private_segment_size 0
		.amdhsa_uses_dynamic_stack 0
		.amdhsa_system_sgpr_private_segment_wavefront_offset 0
		.amdhsa_system_sgpr_workgroup_id_x 1
		.amdhsa_system_sgpr_workgroup_id_y 0
		.amdhsa_system_sgpr_workgroup_id_z 0
		.amdhsa_system_sgpr_workgroup_info 0
		.amdhsa_system_vgpr_workitem_id 0
		.amdhsa_next_free_vgpr 28
		.amdhsa_next_free_sgpr 42
		.amdhsa_accum_offset 28
		.amdhsa_reserve_vcc 1
		.amdhsa_reserve_flat_scratch 0
		.amdhsa_float_round_mode_32 0
		.amdhsa_float_round_mode_16_64 0
		.amdhsa_float_denorm_mode_32 3
		.amdhsa_float_denorm_mode_16_64 3
		.amdhsa_dx10_clamp 1
		.amdhsa_ieee_mode 1
		.amdhsa_fp16_overflow 0
		.amdhsa_tg_split 0
		.amdhsa_exception_fp_ieee_invalid_op 0
		.amdhsa_exception_fp_denorm_src 0
		.amdhsa_exception_fp_ieee_div_zero 0
		.amdhsa_exception_fp_ieee_overflow 0
		.amdhsa_exception_fp_ieee_underflow 0
		.amdhsa_exception_fp_ieee_inexact 0
		.amdhsa_exception_int_div_zero 0
	.end_amdhsa_kernel
	.section	.text._ZN2at6native32elementwise_kernel_manual_unrollILi128ELi4EZNS0_15gpu_kernel_implIZZZNS0_12_GLOBAL__N_121bessel_j0_kernel_cudaERNS_18TensorIteratorBaseEENKUlvE_clEvENKUlvE0_clEvEUlfE_EEvS5_RKT_EUlibE_EEviT1_,"axG",@progbits,_ZN2at6native32elementwise_kernel_manual_unrollILi128ELi4EZNS0_15gpu_kernel_implIZZZNS0_12_GLOBAL__N_121bessel_j0_kernel_cudaERNS_18TensorIteratorBaseEENKUlvE_clEvENKUlvE0_clEvEUlfE_EEvS5_RKT_EUlibE_EEviT1_,comdat
.Lfunc_end20:
	.size	_ZN2at6native32elementwise_kernel_manual_unrollILi128ELi4EZNS0_15gpu_kernel_implIZZZNS0_12_GLOBAL__N_121bessel_j0_kernel_cudaERNS_18TensorIteratorBaseEENKUlvE_clEvENKUlvE0_clEvEUlfE_EEvS5_RKT_EUlibE_EEviT1_, .Lfunc_end20-_ZN2at6native32elementwise_kernel_manual_unrollILi128ELi4EZNS0_15gpu_kernel_implIZZZNS0_12_GLOBAL__N_121bessel_j0_kernel_cudaERNS_18TensorIteratorBaseEENKUlvE_clEvENKUlvE0_clEvEUlfE_EEvS5_RKT_EUlibE_EEviT1_
                                        ; -- End function
	.section	.AMDGPU.csdata,"",@progbits
; Kernel info:
; codeLenInByte = 56960
; NumSgprs: 46
; NumVgprs: 28
; NumAgprs: 0
; TotalNumVgprs: 28
; ScratchSize: 0
; MemoryBound: 1
; FloatMode: 240
; IeeeMode: 1
; LDSByteSize: 0 bytes/workgroup (compile time only)
; SGPRBlocks: 5
; VGPRBlocks: 3
; NumSGPRsForWavesPerEU: 46
; NumVGPRsForWavesPerEU: 28
; AccumOffset: 28
; Occupancy: 8
; WaveLimiterHint : 0
; COMPUTE_PGM_RSRC2:SCRATCH_EN: 0
; COMPUTE_PGM_RSRC2:USER_SGPR: 6
; COMPUTE_PGM_RSRC2:TRAP_HANDLER: 0
; COMPUTE_PGM_RSRC2:TGID_X_EN: 1
; COMPUTE_PGM_RSRC2:TGID_Y_EN: 0
; COMPUTE_PGM_RSRC2:TGID_Z_EN: 0
; COMPUTE_PGM_RSRC2:TIDIG_COMP_CNT: 0
; COMPUTE_PGM_RSRC3_GFX90A:ACCUM_OFFSET: 6
; COMPUTE_PGM_RSRC3_GFX90A:TG_SPLIT: 0
	.section	.text._ZN2at6native32elementwise_kernel_manual_unrollILi128ELi4EZNS0_15gpu_kernel_implIZZZNS0_12_GLOBAL__N_121bessel_j0_kernel_cudaERNS_18TensorIteratorBaseEENKUlvE_clEvENKUlvE0_clEvEUlfE_EEvS5_RKT_EUlibE0_EEviT1_,"axG",@progbits,_ZN2at6native32elementwise_kernel_manual_unrollILi128ELi4EZNS0_15gpu_kernel_implIZZZNS0_12_GLOBAL__N_121bessel_j0_kernel_cudaERNS_18TensorIteratorBaseEENKUlvE_clEvENKUlvE0_clEvEUlfE_EEvS5_RKT_EUlibE0_EEviT1_,comdat
	.globl	_ZN2at6native32elementwise_kernel_manual_unrollILi128ELi4EZNS0_15gpu_kernel_implIZZZNS0_12_GLOBAL__N_121bessel_j0_kernel_cudaERNS_18TensorIteratorBaseEENKUlvE_clEvENKUlvE0_clEvEUlfE_EEvS5_RKT_EUlibE0_EEviT1_ ; -- Begin function _ZN2at6native32elementwise_kernel_manual_unrollILi128ELi4EZNS0_15gpu_kernel_implIZZZNS0_12_GLOBAL__N_121bessel_j0_kernel_cudaERNS_18TensorIteratorBaseEENKUlvE_clEvENKUlvE0_clEvEUlfE_EEvS5_RKT_EUlibE0_EEviT1_
	.p2align	8
	.type	_ZN2at6native32elementwise_kernel_manual_unrollILi128ELi4EZNS0_15gpu_kernel_implIZZZNS0_12_GLOBAL__N_121bessel_j0_kernel_cudaERNS_18TensorIteratorBaseEENKUlvE_clEvENKUlvE0_clEvEUlfE_EEvS5_RKT_EUlibE0_EEviT1_,@function
_ZN2at6native32elementwise_kernel_manual_unrollILi128ELi4EZNS0_15gpu_kernel_implIZZZNS0_12_GLOBAL__N_121bessel_j0_kernel_cudaERNS_18TensorIteratorBaseEENKUlvE_clEvENKUlvE0_clEvEUlfE_EEvS5_RKT_EUlibE0_EEviT1_: ; @_ZN2at6native32elementwise_kernel_manual_unrollILi128ELi4EZNS0_15gpu_kernel_implIZZZNS0_12_GLOBAL__N_121bessel_j0_kernel_cudaERNS_18TensorIteratorBaseEENKUlvE_clEvENKUlvE0_clEvEUlfE_EEvS5_RKT_EUlibE0_EEviT1_
; %bb.0:
	s_load_dword s72, s[4:5], 0x0
	s_load_dword s33, s[4:5], 0x8
	s_or_b32 s34, s4, 8
	v_lshl_or_b32 v13, s6, 9, v0
	v_or_b32_e32 v16, 0x180, v13
	s_mov_b32 s35, s5
	s_waitcnt lgkmcnt(0)
	s_add_i32 s74, s33, -1
	s_cmp_gt_u32 s74, 1
	v_cmp_le_i32_e32 vcc, s72, v16
	s_cselect_b64 s[42:43], -1, 0
	s_mov_b64 s[40:41], 0
	s_mov_b64 s[6:7], 0
	s_and_saveexec_b64 s[0:1], vcc
	s_xor_b64 s[44:45], exec, s[0:1]
	s_cbranch_execz .LBB21_1154
; %bb.1:
	v_mov_b32_e32 v0, 0
	global_load_ushort v6, v0, s[34:35] offset:345
	s_load_dwordx4 s[36:39], s[34:35], 0x4
	s_load_dwordx2 s[46:47], s[34:35], 0x14
	s_load_dwordx4 s[28:31], s[34:35], 0xc4
	s_load_dwordx4 s[24:27], s[34:35], 0x148
	s_cmp_lg_u32 s33, 0
	s_cselect_b64 s[52:53], -1, 0
	s_add_u32 s50, s34, 0xc4
	s_addc_u32 s51, s35, 0
	s_min_u32 s73, s74, 15
	s_cmp_gt_u32 s33, 1
	v_cmp_gt_i32_e32 vcc, s72, v13
	s_mov_b64 s[2:3], -1
	s_mov_b64 s[62:63], 0
	s_mov_b64 s[56:57], 0
	s_cselect_b64 s[48:49], -1, 0
	s_mov_b64 s[54:55], 0
	s_waitcnt vmcnt(0)
	v_lshrrev_b16_e32 v5, 8, v6
	s_and_saveexec_b64 s[58:59], vcc
	s_cbranch_execz .LBB21_283
; %bb.2:
	s_andn2_b64 vcc, exec, s[42:43]
	s_cbranch_vccnz .LBB21_8
; %bb.3:
	s_mov_b32 s6, 0
	s_andn2_b64 vcc, exec, s[52:53]
	v_mov_b32_e32 v2, 0
	v_mov_b32_e32 v0, 0
	s_cbranch_vccnz .LBB21_14
; %bb.4:
	s_add_i32 s60, s73, 1
	s_cmp_eq_u32 s74, 2
	s_cbranch_scc1 .LBB21_9
; %bb.5:
	s_and_b32 s6, s60, 28
	s_mov_b32 s7, 0
	v_mov_b32_e32 v0, 0
	s_mov_b64 s[54:55], s[34:35]
	s_mov_b64 s[56:57], s[50:51]
	v_mov_b32_e32 v3, v13
	v_mov_b32_e32 v2, 0
.LBB21_6:                               ; =>This Inner Loop Header: Depth=1
	s_load_dwordx8 s[16:23], s[54:55], 0x4
	s_load_dwordx4 s[0:3], s[54:55], 0x24
	s_load_dwordx8 s[8:15], s[56:57], 0x0
	s_add_u32 s54, s54, 48
	s_addc_u32 s55, s55, 0
	s_waitcnt lgkmcnt(0)
	v_mul_hi_u32 v1, s17, v3
	v_add_u32_e32 v1, v3, v1
	v_lshrrev_b32_e32 v1, s18, v1
	v_mul_lo_u32 v4, v1, s16
	v_mul_hi_u32 v7, s20, v1
	v_sub_u32_e32 v3, v3, v4
	v_add_u32_e32 v4, v1, v7
	v_lshrrev_b32_e32 v4, s21, v4
	v_mul_lo_u32 v8, v4, s19
	v_mul_hi_u32 v9, s23, v4
	v_sub_u32_e32 v1, v1, v8
	v_add_u32_e32 v8, v4, v9
	v_mul_lo_u32 v7, v3, s9
	v_mul_lo_u32 v3, v3, s8
	;; [unrolled: 1-line block ×4, first 2 shown]
	v_lshrrev_b32_e32 v8, s0, v8
	v_add3_u32 v0, v3, v0, v1
	v_mul_hi_u32 v3, s2, v8
	v_add_u32_e32 v3, v8, v3
	v_lshrrev_b32_e32 v3, s3, v3
	s_add_i32 s7, s7, 4
	v_add3_u32 v1, v7, v2, v9
	v_mul_lo_u32 v2, v8, s22
	v_mul_lo_u32 v7, v3, s1
	s_add_u32 s56, s56, 32
	v_sub_u32_e32 v2, v4, v2
	v_sub_u32_e32 v7, v8, v7
	s_addc_u32 s57, s57, 0
	v_mul_lo_u32 v4, v2, s12
	v_mul_lo_u32 v2, v2, s13
	;; [unrolled: 1-line block ×4, first 2 shown]
	s_cmp_lg_u32 s6, s7
	v_add3_u32 v2, v2, v1, v7
	v_add3_u32 v0, v4, v0, v8
	s_cbranch_scc1 .LBB21_6
; %bb.7:
	v_mov_b32_e32 v1, v2
	s_branch .LBB21_10
.LBB21_8:
                                        ; implicit-def: $vgpr2
                                        ; implicit-def: $vgpr0
	s_branch .LBB21_15
.LBB21_9:
	s_mov_b32 s7, s6
	v_pk_mov_b32 v[0:1], s[6:7], s[6:7] op_sel:[0,1]
                                        ; implicit-def: $vgpr2
	v_mov_b32_e32 v3, v13
.LBB21_10:
	s_and_b32 s7, s60, 3
	s_cmp_eq_u32 s7, 0
	s_cbranch_scc1 .LBB21_14
; %bb.11:
	s_lshl_b32 s0, s6, 3
	s_add_u32 s0, s0, s34
	s_addc_u32 s1, s35, 0
	s_add_u32 s0, s0, 0xc4
	s_addc_u32 s1, s1, 0
	s_mul_i32 s2, s6, 12
	s_add_u32 s2, s34, s2
	s_addc_u32 s3, s35, 0
.LBB21_12:                              ; =>This Inner Loop Header: Depth=1
	s_load_dwordx2 s[8:9], s[2:3], 0x4
	s_load_dword s6, s[2:3], 0xc
	s_load_dwordx2 s[10:11], s[0:1], 0x0
	v_mov_b32_e32 v2, v1
	s_add_u32 s2, s2, 12
	s_waitcnt lgkmcnt(0)
	v_mul_hi_u32 v1, s9, v3
	v_add_u32_e32 v1, v3, v1
	v_lshrrev_b32_e32 v1, s6, v1
	s_addc_u32 s3, s3, 0
	v_mul_lo_u32 v4, v1, s8
	s_add_u32 s0, s0, 8
	v_sub_u32_e32 v4, v3, v4
	v_mov_b32_e32 v3, v1
	s_addc_u32 s1, s1, 0
	s_add_i32 s7, s7, -1
	v_mad_u64_u32 v[8:9], s[8:9], v4, s11, v[2:3]
	v_mad_u64_u32 v[0:1], s[8:9], v4, s10, v[0:1]
	s_cmp_lg_u32 s7, 0
	v_mov_b32_e32 v1, v8
	s_cbranch_scc1 .LBB21_12
; %bb.13:
	v_mov_b32_e32 v2, v1
.LBB21_14:
	s_cbranch_execnz .LBB21_17
.LBB21_15:
	s_waitcnt lgkmcnt(0)
	v_mul_hi_u32 v0, s37, v13
	v_add_u32_e32 v0, v13, v0
	v_lshrrev_b32_e32 v1, s38, v0
	v_mul_lo_u32 v0, v1, s36
	v_sub_u32_e32 v0, v13, v0
	v_mul_lo_u32 v2, v0, s29
	s_andn2_b64 vcc, exec, s[48:49]
	v_mul_lo_u32 v0, v0, s28
	s_cbranch_vccnz .LBB21_17
; %bb.16:
	v_mul_hi_u32 v3, s46, v1
	v_add_u32_e32 v3, v1, v3
	v_lshrrev_b32_e32 v3, s47, v3
	v_mul_lo_u32 v3, v3, s39
	v_sub_u32_e32 v3, v1, v3
	v_mad_u64_u32 v[0:1], s[0:1], v3, s30, v[0:1]
	v_mad_u64_u32 v[2:3], s[0:1], v3, s31, v[2:3]
.LBB21_17:
	s_waitcnt lgkmcnt(0)
	v_mov_b32_e32 v1, s27
	v_add_co_u32_e32 v2, vcc, s26, v2
	v_addc_co_u32_e32 v3, vcc, 0, v1, vcc
	v_cmp_gt_i16_e32 vcc, 11, v5
	s_cbranch_vccnz .LBB21_24
; %bb.18:
	v_cmp_lt_i16_e32 vcc, 25, v5
	s_cbranch_vccz .LBB21_35
; %bb.19:
	v_cmp_lt_i16_e32 vcc, 28, v5
	s_cbranch_vccz .LBB21_52
	;; [unrolled: 3-line block ×4, first 2 shown]
; %bb.22:
	v_cmp_eq_u16_e32 vcc, 46, v5
	s_mov_b64 s[2:3], 0
	s_cbranch_vccz .LBB21_58
; %bb.23:
	global_load_dword v1, v[2:3], off
	s_mov_b64 s[0:1], -1
	s_mov_b64 s[8:9], 0
	s_waitcnt vmcnt(0)
	v_lshlrev_b32_e32 v1, 16, v1
	s_branch .LBB21_60
.LBB21_24:
	s_mov_b64 s[8:9], 0
                                        ; implicit-def: $vgpr1
	s_mov_b64 s[0:1], 0
	s_cbranch_execnz .LBB21_233
.LBB21_25:
	s_andn2_b64 vcc, exec, s[0:1]
	s_cbranch_vccnz .LBB21_280
.LBB21_26:
	s_waitcnt vmcnt(0)
	v_cmp_gt_f32_e32 vcc, 0, v1
	v_cndmask_b32_e64 v1, v1, -v1, vcc
	s_mov_b32 s0, 0x40a00000
	v_cmp_ge_f32_e32 vcc, s0, v1
                                        ; implicit-def: $vgpr2
	s_and_saveexec_b64 s[0:1], vcc
	s_xor_b64 s[0:1], exec, s[0:1]
	s_cbranch_execz .LBB21_32
; %bb.27:
	s_mov_b32 s2, 0x3727c5ac
	v_cmp_ngt_f32_e32 vcc, s2, v1
	v_mul_f32_e32 v4, v1, v1
                                        ; implicit-def: $vgpr2
	s_and_saveexec_b64 s[2:3], vcc
	s_xor_b64 s[2:3], exec, s[2:3]
	s_cbranch_execz .LBB21_29
; %bb.28:
	v_mov_b32_e32 v1, 0x43f9c815
	v_fmac_f32_e32 v1, 0, v4
	v_mov_b32_e32 v3, 0x4829b65a
	v_fmac_f32_e32 v3, v4, v1
	;; [unrolled: 2-line block ×4, first 2 shown]
	s_mov_b32 s6, 0xcf8ee29d
	v_mul_f32_e32 v2, 0, v4
	v_mul_f32_e32 v3, v4, v3
	s_mov_b32 s7, 0x53f5f59c
	v_pk_add_f32 v[2:3], v[2:3], s[6:7]
	s_mov_b32 s6, 0x53e3ba8e
	s_mov_b32 s7, 0x578d3514
	v_pk_fma_f32 v[2:3], v[4:5], v[2:3], s[6:7] op_sel_hi:[0,1,1]
	s_mov_b32 s6, 0xd762b0a7
	s_mov_b32 s7, 0x5ae20a0c
	v_pk_fma_f32 v[2:3], v[4:5], v[2:3], s[6:7] op_sel_hi:[0,1,1]
	s_mov_b32 s6, 0x5a09f7c3
	s_mov_b32 s7, 0x5dbdf1a6
	v_pk_fma_f32 v[2:3], v[4:5], v[2:3], s[6:7] op_sel_hi:[0,1,1]
	s_mov_b32 s6, 0xc0b90fdc
	s_mov_b32 s7, 0xc1f3c525
	v_pk_add_f32 v[8:9], v[4:5], s[6:7] op_sel_hi:[0,1]
	v_mul_f32_e32 v1, v8, v9
	v_mul_f32_e32 v1, v1, v2
	v_div_scale_f32 v2, s[6:7], v3, v3, v1
	v_rcp_f32_e32 v4, v2
	v_fma_f32 v7, -v2, v4, 1.0
	v_fmac_f32_e32 v4, v7, v4
	v_div_scale_f32 v7, vcc, v1, v3, v1
	v_mul_f32_e32 v8, v7, v4
	v_fma_f32 v9, -v2, v8, v7
	v_fmac_f32_e32 v8, v9, v4
	v_fma_f32 v2, -v2, v8, v7
	v_div_fmas_f32 v2, v2, v4, v8
	v_div_fixup_f32 v2, v2, v3, v1
                                        ; implicit-def: $vgpr4
.LBB21_29:
	s_andn2_saveexec_b64 s[2:3], s[2:3]
; %bb.30:
	s_mov_b32 s6, 0xbe800000
	v_fma_f32 v2, v4, s6, 1.0
; %bb.31:
	s_or_b64 exec, exec, s[2:3]
                                        ; implicit-def: $vgpr1
.LBB21_32:
	s_andn2_saveexec_b64 s[10:11], s[0:1]
	s_cbranch_execz .LBB21_43
; %bb.33:
	v_add_f32_e32 v2, 0xbf490fdb, v1
	s_brev_b32 s0, 18
	v_and_b32_e32 v3, 0x7fffffff, v2
	v_cmp_nlt_f32_e64 s[12:13], |v2|, s0
                                        ; implicit-def: $vgpr4
                                        ; implicit-def: $vgpr7
	s_and_saveexec_b64 s[0:1], s[12:13]
	s_xor_b64 s[14:15], exec, s[0:1]
	s_cbranch_execz .LBB21_36
; %bb.34:
	v_lshrrev_b32_e32 v4, 23, v3
	v_add_u32_e32 v4, 0xffffff88, v4
	v_not_b32_e32 v7, 63
	v_cmp_lt_u32_e32 vcc, 63, v4
	v_cndmask_b32_e32 v7, 0, v7, vcc
	v_add_u32_e32 v4, v7, v4
	v_not_b32_e32 v7, 31
	v_cmp_lt_u32_e64 s[0:1], 31, v4
	v_cndmask_b32_e64 v8, 0, v7, s[0:1]
	v_add_u32_e32 v4, v8, v4
	v_cmp_lt_u32_e64 s[2:3], 31, v4
	v_cndmask_b32_e64 v7, 0, v7, s[2:3]
	v_add_u32_e32 v4, v7, v4
	v_and_b32_e32 v7, 0x7fffff, v3
	v_or_b32_e32 v7, 0x800000, v7
	s_mov_b32 s6, 0xfe5163ab
	v_mad_u64_u32 v[10:11], s[6:7], v7, s6, 0
	v_mov_b32_e32 v9, 0
	v_mov_b32_e32 v8, v11
	s_mov_b32 s6, 0x3c439041
	v_mad_u64_u32 v[14:15], s[6:7], v7, s6, v[8:9]
	v_mov_b32_e32 v8, v15
	s_mov_b32 s6, 0xdb629599
	v_mad_u64_u32 v[16:17], s[6:7], v7, s6, v[8:9]
	;; [unrolled: 3-line block ×6, first 2 shown]
	v_cndmask_b32_e32 v11, v22, v18, vcc
	v_cndmask_b32_e32 v7, v8, v20, vcc
	;; [unrolled: 1-line block ×3, first 2 shown]
	v_cndmask_b32_e64 v8, v7, v11, s[0:1]
	v_cndmask_b32_e64 v7, v9, v7, s[0:1]
	v_cndmask_b32_e32 v9, v20, v16, vcc
	v_cndmask_b32_e64 v11, v11, v9, s[0:1]
	v_cndmask_b32_e64 v7, v7, v8, s[2:3]
	;; [unrolled: 1-line block ×3, first 2 shown]
	v_sub_u32_e32 v12, 32, v4
	v_alignbit_b32 v15, v7, v8, v12
	v_cmp_eq_u32_e64 s[6:7], 0, v4
	v_cndmask_b32_e64 v4, v15, v7, s[6:7]
	v_cndmask_b32_e32 v7, v18, v14, vcc
	v_cndmask_b32_e64 v9, v9, v7, s[0:1]
	v_cndmask_b32_e64 v11, v11, v9, s[2:3]
	v_alignbit_b32 v14, v8, v11, v12
	v_cndmask_b32_e64 v8, v14, v8, s[6:7]
	v_bfe_u32 v17, v4, 29, 1
	v_cndmask_b32_e32 v10, v16, v10, vcc
	v_alignbit_b32 v14, v4, v8, 30
	v_sub_u32_e32 v18, 0, v17
	v_cndmask_b32_e64 v7, v7, v10, s[0:1]
	v_xor_b32_e32 v19, v14, v18
	v_cndmask_b32_e64 v7, v9, v7, s[2:3]
	v_alignbit_b32 v9, v11, v7, v12
	v_ffbh_u32_e32 v10, v19
	v_cndmask_b32_e64 v9, v9, v11, s[6:7]
	v_add_u32_e32 v10, 1, v10
	v_cmp_ne_u32_e32 vcc, v14, v18
	v_alignbit_b32 v8, v8, v9, 30
	v_cndmask_b32_e32 v10, 33, v10, vcc
	v_alignbit_b32 v7, v9, v7, 30
	v_xor_b32_e32 v8, v8, v18
	v_sub_u32_e32 v11, 32, v10
	v_xor_b32_e32 v7, v7, v18
	v_alignbit_b32 v12, v19, v8, v11
	v_alignbit_b32 v7, v8, v7, v11
	;; [unrolled: 1-line block ×3, first 2 shown]
	v_ffbh_u32_e32 v9, v8
	v_min_u32_e32 v9, 32, v9
	v_lshrrev_b32_e32 v15, 29, v4
	v_sub_u32_e32 v11, 31, v9
	v_alignbit_b32 v7, v8, v7, v11
	v_lshlrev_b32_e32 v8, 31, v15
	v_or_b32_e32 v11, 0x33800000, v8
	v_add_lshl_u32 v9, v9, v10, 23
	v_lshrrev_b32_e32 v7, 9, v7
	v_sub_u32_e32 v9, v11, v9
	v_or_b32_e32 v7, v9, v7
	v_alignbit_b32 v9, v10, v12, 9
	v_or_b32_e32 v8, v9, v8
	v_xor_b32_e32 v8, 1.0, v8
	s_mov_b32 s0, 0x3fc90fda
	v_mul_f32_e32 v9, 0x3fc90fda, v8
	v_fma_f32 v10, v8, s0, -v9
	v_fmac_f32_e32 v10, 0x33a22168, v8
	v_fmac_f32_e32 v10, 0x3fc90fda, v7
	v_lshrrev_b32_e32 v4, 30, v4
	v_add_f32_e32 v7, v9, v10
	v_add_u32_e32 v4, v17, v4
	s_andn2_saveexec_b64 s[0:1], s[14:15]
	s_branch .LBB21_37
.LBB21_35:
	s_mov_b64 s[8:9], 0
	s_mov_b64 s[0:1], 0
                                        ; implicit-def: $vgpr1
	s_cbranch_execnz .LBB21_198
	s_branch .LBB21_232
.LBB21_36:
	s_andn2_saveexec_b64 s[0:1], s[14:15]
.LBB21_37:
	s_mov_b32 s2, 0x3f22f983
	v_mul_f32_e64 v4, |v2|, s2
	v_rndne_f32_e32 v8, v4
	s_mov_b32 s2, 0xbfc90fda
	v_cvt_i32_f32_e32 v4, v8
	v_fma_f32 v7, v8, s2, |v2|
	v_fmac_f32_e32 v7, 0xb3a22168, v8
	v_fmac_f32_e32 v7, 0xa7c234c4, v8
; %bb.38:
	s_or_b64 exec, exec, s[0:1]
                                        ; implicit-def: $vgpr8
                                        ; implicit-def: $vgpr9
	s_and_saveexec_b64 s[0:1], s[12:13]
	s_xor_b64 s[12:13], exec, s[0:1]
	s_cbranch_execz .LBB21_40
; %bb.39:
	v_lshrrev_b32_e32 v8, 23, v3
	v_add_u32_e32 v8, 0xffffff88, v8
	v_not_b32_e32 v10, 63
	v_cmp_lt_u32_e32 vcc, 63, v8
	v_cndmask_b32_e32 v10, 0, v10, vcc
	v_add_u32_e32 v8, v10, v8
	v_not_b32_e32 v10, 31
	v_cmp_lt_u32_e64 s[0:1], 31, v8
	v_cndmask_b32_e64 v11, 0, v10, s[0:1]
	v_add_u32_e32 v8, v11, v8
	v_cmp_lt_u32_e64 s[2:3], 31, v8
	v_cndmask_b32_e64 v10, 0, v10, s[2:3]
	v_add_u32_e32 v12, v10, v8
	v_and_b32_e32 v8, 0x7fffff, v3
	v_or_b32_e32 v24, 0x800000, v8
	s_mov_b32 s6, 0xfe5163ab
	v_mad_u64_u32 v[10:11], s[6:7], v24, s6, 0
	v_mov_b32_e32 v9, 0
	v_mov_b32_e32 v8, v11
	s_mov_b32 s6, 0x3c439041
	v_mad_u64_u32 v[14:15], s[6:7], v24, s6, v[8:9]
	v_mov_b32_e32 v8, v15
	s_mov_b32 s6, 0xdb629599
	v_mad_u64_u32 v[16:17], s[6:7], v24, s6, v[8:9]
	;; [unrolled: 3-line block ×6, first 2 shown]
	v_cndmask_b32_e32 v11, v22, v18, vcc
	v_cndmask_b32_e32 v8, v8, v20, vcc
	;; [unrolled: 1-line block ×3, first 2 shown]
	v_cndmask_b32_e64 v15, v8, v11, s[0:1]
	v_cndmask_b32_e64 v8, v9, v8, s[0:1]
	v_cndmask_b32_e32 v9, v20, v16, vcc
	v_cndmask_b32_e64 v11, v11, v9, s[0:1]
	v_sub_u32_e32 v17, 32, v12
	v_cmp_eq_u32_e64 s[6:7], 0, v12
	v_cndmask_b32_e32 v12, v18, v14, vcc
	v_cndmask_b32_e64 v8, v8, v15, s[2:3]
	v_cndmask_b32_e64 v15, v15, v11, s[2:3]
	;; [unrolled: 1-line block ×3, first 2 shown]
	v_alignbit_b32 v19, v8, v15, v17
	v_cndmask_b32_e64 v11, v11, v9, s[2:3]
	v_cndmask_b32_e64 v8, v19, v8, s[6:7]
	v_alignbit_b32 v14, v15, v11, v17
	v_cndmask_b32_e64 v14, v14, v15, s[6:7]
	v_bfe_u32 v19, v8, 29, 1
	v_cndmask_b32_e32 v10, v16, v10, vcc
	v_alignbit_b32 v15, v8, v14, 30
	v_sub_u32_e32 v20, 0, v19
	v_cndmask_b32_e64 v10, v12, v10, s[0:1]
	v_xor_b32_e32 v21, v15, v20
	v_cndmask_b32_e64 v9, v9, v10, s[2:3]
	v_alignbit_b32 v10, v11, v9, v17
	v_ffbh_u32_e32 v12, v21
	v_cndmask_b32_e64 v10, v10, v11, s[6:7]
	v_add_u32_e32 v12, 1, v12
	v_cmp_ne_u32_e32 vcc, v15, v20
	v_alignbit_b32 v11, v14, v10, 30
	v_cndmask_b32_e32 v12, 33, v12, vcc
	v_alignbit_b32 v9, v10, v9, 30
	v_xor_b32_e32 v11, v11, v20
	v_sub_u32_e32 v14, 32, v12
	v_xor_b32_e32 v9, v9, v20
	v_alignbit_b32 v15, v21, v11, v14
	v_alignbit_b32 v9, v11, v9, v14
	;; [unrolled: 1-line block ×3, first 2 shown]
	v_ffbh_u32_e32 v11, v10
	v_min_u32_e32 v11, 32, v11
	v_lshrrev_b32_e32 v18, 29, v8
	v_sub_u32_e32 v14, 31, v11
	v_alignbit_b32 v9, v10, v9, v14
	v_lshlrev_b32_e32 v10, 31, v18
	v_or_b32_e32 v14, 0x33800000, v10
	v_add_lshl_u32 v11, v11, v12, 23
	v_lshrrev_b32_e32 v9, 9, v9
	v_sub_u32_e32 v11, v14, v11
	v_or_b32_e32 v9, v11, v9
	v_alignbit_b32 v11, v12, v15, 9
	v_or_b32_e32 v10, v11, v10
	v_xor_b32_e32 v10, 1.0, v10
	s_mov_b32 s0, 0x3fc90fda
	v_mul_f32_e32 v11, 0x3fc90fda, v10
	v_fma_f32 v12, v10, s0, -v11
	v_fmac_f32_e32 v12, 0x33a22168, v10
	v_fmac_f32_e32 v12, 0x3fc90fda, v9
	v_lshrrev_b32_e32 v8, 30, v8
	v_add_f32_e32 v9, v11, v12
	v_add_u32_e32 v8, v19, v8
	s_andn2_saveexec_b64 s[0:1], s[12:13]
	s_cbranch_execnz .LBB21_41
	s_branch .LBB21_42
.LBB21_40:
	s_andn2_saveexec_b64 s[0:1], s[12:13]
.LBB21_41:
	s_mov_b32 s2, 0x3f22f983
	v_mul_f32_e64 v8, |v2|, s2
	v_rndne_f32_e32 v10, v8
	s_mov_b32 s2, 0xbfc90fda
	v_cvt_i32_f32_e32 v8, v10
	v_fma_f32 v9, v10, s2, |v2|
	v_fmac_f32_e32 v9, 0xb3a22168, v10
	v_fmac_f32_e32 v9, 0xa7c234c4, v10
.LBB21_42:
	s_or_b64 exec, exec, s[0:1]
	v_mul_f32_e32 v10, v1, v1
	s_mov_b32 s2, 0x41c80000
	v_div_scale_f32 v11, s[0:1], v10, v10, s2
	v_rcp_f32_e32 v12, v11
	v_mov_b32_e32 v20, 0xbf000004
	s_mov_b32 s6, 0xc0a00000
	v_fma_f32 v14, -v11, v12, 1.0
	v_fmac_f32_e32 v12, v14, v12
	v_div_scale_f32 v14, vcc, s2, v10, s2
	v_mul_f32_e32 v15, v14, v12
	v_fma_f32 v16, -v11, v15, v14
	v_fmac_f32_e32 v15, v16, v12
	v_fma_f32 v11, -v11, v15, v14
	v_div_fmas_f32 v11, v11, v12, v15
	v_div_fixup_f32 v10, v11, v10, s2
	v_mov_b32_e32 v11, 0x3a50e985
	v_fmac_f32_e32 v11, 0, v10
	v_mov_b32_e32 v12, 0x3da9a586
	v_fmac_f32_e32 v12, v10, v11
	;; [unrolled: 2-line block ×12, first 2 shown]
	v_fma_f32 v11, v10, v14, 1.0
	v_mov_b32_e32 v14, 0xbc3a3a12
	v_fmac_f32_e32 v14, 0, v10
	v_mov_b32_e32 v15, 0xbfa429da
	v_fmac_f32_e32 v15, v10, v14
	;; [unrolled: 2-line block ×9, first 2 shown]
	v_mov_b32_e32 v16, 0x44561b86
	v_fma_f32 v12, v10, v12, 1.0
	v_fmac_f32_e32 v16, v10, v14
	v_mov_b32_e32 v14, 0x4572a66e
	v_div_scale_f32 v17, s[0:1], v11, v11, v12
	v_fmac_f32_e32 v14, v10, v16
	v_mov_b32_e32 v16, 0x45e243be
	v_rcp_f32_e32 v18, v17
	v_fmac_f32_e32 v16, v10, v14
	v_mov_b32_e32 v14, 0x45b955d1
	v_fmac_f32_e32 v14, v10, v16
	v_mov_b32_e32 v16, 0x4500e17e
	;; [unrolled: 2-line block ×3, first 2 shown]
	v_fmac_f32_e32 v14, v10, v16
	v_fma_f32 v10, -v17, v18, 1.0
	v_fmac_f32_e32 v18, v10, v18
	v_div_scale_f32 v10, vcc, v12, v11, v12
	v_mul_f32_e32 v16, v10, v18
	v_fma_f32 v19, -v17, v16, v10
	v_fmac_f32_e32 v16, v19, v18
	v_fma_f32 v10, -v17, v16, v10
	v_div_fmas_f32 v10, v10, v18, v16
	v_div_fixup_f32 v10, v10, v11, v12
	v_mul_f32_e32 v11, v7, v7
	v_mov_b32_e32 v18, 0xbab64f3b
	v_mov_b32_e32 v16, 0x3c0881c4
	v_fmac_f32_e32 v18, 0x37d75334, v11
	v_mov_b32_e32 v19, 0x3d2aabf7
	v_fmac_f32_e32 v16, 0xb94c1982, v11
	v_mov_b32_e32 v17, 0xbe2aaa9d
	v_fma_f32 v18, v11, v18, v19
	v_fma_f32 v16, v11, v16, v17
	;; [unrolled: 1-line block ×3, first 2 shown]
	v_mul_f32_e32 v16, v11, v16
	v_fma_f32 v11, v11, v18, 1.0
	v_and_b32_e32 v18, 1, v4
	v_fmac_f32_e32 v7, v7, v16
	v_cmp_eq_u32_e32 vcc, 0, v18
	v_lshlrev_b32_e32 v4, 30, v4
	v_cndmask_b32_e64 v7, -v7, v11, vcc
	v_and_b32_e32 v4, 0x80000000, v4
	v_xor_b32_e32 v4, v4, v7
	v_div_scale_f32 v7, s[0:1], v1, v1, s6
	v_rcp_f32_e32 v11, v7
	s_movk_i32 s2, 0x1f8
	v_cmp_class_f32_e64 s[0:1], v2, s2
	v_mov_b32_e32 v12, 0x3c0881c4
	v_fma_f32 v21, -v7, v11, 1.0
	v_fmac_f32_e32 v11, v21, v11
	v_div_scale_f32 v21, vcc, s6, v1, s6
	v_mul_f32_e32 v22, v21, v11
	v_fma_f32 v23, -v7, v22, v21
	v_fmac_f32_e32 v22, v23, v11
	v_fma_f32 v7, -v7, v22, v21
	v_div_scale_f32 v21, s[2:3], v14, v14, v15
	v_rcp_f32_e32 v23, v21
	v_div_fmas_f32 v7, v7, v11, v22
	v_div_fixup_f32 v7, v7, v1, s6
	v_mov_b32_e32 v16, 0xbab64f3b
	v_fma_f32 v11, -v21, v23, 1.0
	v_fmac_f32_e32 v23, v11, v23
	v_div_scale_f32 v11, vcc, v15, v14, v15
	v_mul_f32_e32 v22, v11, v23
	v_fma_f32 v24, -v21, v22, v11
	v_fmac_f32_e32 v22, v24, v23
	v_fma_f32 v11, -v21, v22, v11
	v_div_fmas_f32 v11, v11, v23, v22
	v_div_fixup_f32 v11, v11, v14, v15
	v_mul_f32_e32 v7, v7, v11
	v_mul_f32_e32 v11, v9, v9
	v_fmac_f32_e32 v12, 0xb94c1982, v11
	v_fmac_f32_e32 v17, v11, v12
	;; [unrolled: 1-line block ×3, first 2 shown]
	v_mul_f32_e32 v12, v11, v17
	v_fmac_f32_e32 v19, v11, v16
	v_fmac_f32_e32 v9, v9, v12
	;; [unrolled: 1-line block ×3, first 2 shown]
	v_and_b32_e32 v12, 1, v8
	v_lshlrev_b32_e32 v8, 30, v8
	v_fma_f32 v11, v11, v20, 1.0
	v_cmp_eq_u32_e32 vcc, 0, v12
	v_and_b32_e32 v8, 0x80000000, v8
	v_xor_b32_e32 v2, v3, v2
	v_cndmask_b32_e32 v9, v11, v9, vcc
	v_xor_b32_e32 v2, v2, v8
	v_mov_b32_e32 v18, 0x7fc00000
	v_xor_b32_e32 v2, v2, v9
	v_cndmask_b32_e64 v4, v18, v4, s[0:1]
	v_cndmask_b32_e64 v2, v18, v2, s[0:1]
	s_mov_b32 s0, 0xf800000
	v_mul_f32_e32 v3, 0x4f800000, v1
	v_cmp_gt_f32_e32 vcc, s0, v1
	v_cndmask_b32_e32 v1, v1, v3, vcc
	v_sqrt_f32_e32 v3, v1
	v_mul_f32_e32 v2, v7, v2
	v_fmac_f32_e32 v2, v10, v4
	v_mul_f32_e32 v2, 0x3f4c422a, v2
	v_add_u32_e32 v4, -1, v3
	v_fma_f32 v7, -v4, v3, v1
	v_cmp_ge_f32_e64 s[0:1], 0, v7
	v_add_u32_e32 v7, 1, v3
	v_cndmask_b32_e64 v4, v3, v4, s[0:1]
	v_fma_f32 v3, -v7, v3, v1
	v_cmp_lt_f32_e64 s[0:1], 0, v3
	v_cndmask_b32_e64 v3, v4, v7, s[0:1]
	v_mul_f32_e32 v4, 0x37800000, v3
	v_cndmask_b32_e32 v3, v3, v4, vcc
	v_mov_b32_e32 v4, 0x260
	v_cmp_class_f32_e32 vcc, v1, v4
	v_cndmask_b32_e32 v1, v3, v1, vcc
	v_div_scale_f32 v3, s[0:1], v1, v1, v2
	v_rcp_f32_e32 v4, v3
	v_fma_f32 v7, -v3, v4, 1.0
	v_fmac_f32_e32 v4, v7, v4
	v_div_scale_f32 v7, vcc, v2, v1, v2
	v_mul_f32_e32 v8, v7, v4
	v_fma_f32 v9, -v3, v8, v7
	v_fmac_f32_e32 v8, v9, v4
	v_fma_f32 v3, -v3, v8, v7
	v_div_fmas_f32 v3, v3, v4, v8
	v_div_fixup_f32 v2, v3, v1, v2
.LBB21_43:
	s_or_b64 exec, exec, s[10:11]
	v_mov_b32_e32 v1, s25
	v_add_co_u32_e32 v0, vcc, s24, v0
	v_mov_b32_e32 v3, 11
	v_addc_co_u32_e32 v1, vcc, 0, v1, vcc
	v_cmp_lt_i16_sdwa s[0:1], v6, v3 src0_sel:BYTE_0 src1_sel:DWORD
	s_and_b64 vcc, exec, s[0:1]
	s_cbranch_vccnz .LBB21_50
; %bb.44:
	v_mov_b32_e32 v3, 25
	v_cmp_gt_i16_sdwa s[0:1], v6, v3 src0_sel:BYTE_0 src1_sel:DWORD
	s_and_b64 vcc, exec, s[0:1]
	s_cbranch_vccz .LBB21_53
; %bb.45:
	v_mov_b32_e32 v3, 28
	v_cmp_gt_i16_sdwa s[0:1], v6, v3 src0_sel:BYTE_0 src1_sel:DWORD
	s_and_b64 vcc, exec, s[0:1]
	s_cbranch_vccz .LBB21_55
	;; [unrolled: 5-line block ×4, first 2 shown]
; %bb.48:
	v_mov_b32_e32 v3, 46
	v_cmp_eq_u16_sdwa s[2:3], v6, v3 src0_sel:BYTE_0 src1_sel:DWORD
	s_mov_b64 s[6:7], 0
	s_mov_b64 s[0:1], -1
	s_and_b64 vcc, exec, s[2:3]
	s_mov_b64 s[2:3], 0
	s_cbranch_vccz .LBB21_64
; %bb.49:
	v_bfe_u32 v3, v2, 16, 1
	s_movk_i32 s0, 0x7fff
	v_add3_u32 v3, v2, v3, s0
	v_lshrrev_b32_e32 v3, 16, v3
	v_mov_b32_e32 v4, 0x7fc0
	v_cmp_o_f32_e32 vcc, v2, v2
	v_cndmask_b32_e32 v3, v4, v3, vcc
	global_store_dword v[0:1], v3, off
	s_mov_b64 s[2:3], -1
	s_mov_b64 s[0:1], 0
	s_branch .LBB21_64
.LBB21_50:
	s_mov_b64 s[0:1], 0
	s_mov_b64 s[2:3], 0
	s_cbranch_execnz .LBB21_133
.LBB21_51:
	s_andn2_b64 vcc, exec, s[2:3]
	s_cbranch_vccnz .LBB21_281
	s_branch .LBB21_171
.LBB21_52:
	s_mov_b64 s[2:3], -1
	s_mov_b64 s[8:9], 0
	s_mov_b64 s[0:1], 0
                                        ; implicit-def: $vgpr1
	s_branch .LBB21_179
.LBB21_53:
	s_mov_b64 s[6:7], -1
	s_mov_b64 s[0:1], 0
	s_mov_b64 s[2:3], 0
	s_branch .LBB21_91
.LBB21_54:
	s_mov_b64 s[2:3], -1
	s_mov_b64 s[8:9], 0
	s_mov_b64 s[0:1], 0
                                        ; implicit-def: $vgpr1
	s_branch .LBB21_174
.LBB21_55:
	s_mov_b64 s[6:7], -1
	s_mov_b64 s[0:1], 0
	s_mov_b64 s[2:3], 0
	s_branch .LBB21_74
.LBB21_56:
	s_mov_b64 s[2:3], -1
	s_mov_b64 s[8:9], 0
	s_branch .LBB21_59
.LBB21_57:
	s_mov_b64 s[6:7], -1
	s_mov_b64 s[0:1], 0
	s_mov_b64 s[2:3], 0
	s_branch .LBB21_70
.LBB21_58:
	s_mov_b64 s[8:9], -1
.LBB21_59:
	s_mov_b64 s[0:1], 0
                                        ; implicit-def: $vgpr1
.LBB21_60:
	s_and_b64 vcc, exec, s[2:3]
	s_cbranch_vccz .LBB21_173
; %bb.61:
	v_cmp_eq_u16_e32 vcc, 44, v5
	s_cbranch_vccz .LBB21_172
; %bb.62:
	global_load_ubyte v1, v[2:3], off
	s_movk_i32 s2, 0xff
	v_mov_b32_e32 v4, 0x7f800001
	v_mov_b32_e32 v7, 0x400000
	s_mov_b64 s[0:1], -1
	s_mov_b64 s[8:9], 0
	s_waitcnt vmcnt(0)
	v_lshlrev_b32_e32 v8, 23, v1
	v_cmp_ne_u32_e32 vcc, s2, v1
	v_cndmask_b32_e32 v4, v4, v8, vcc
	v_cmp_ne_u32_e32 vcc, 0, v1
	v_cndmask_b32_e32 v1, v7, v4, vcc
	s_branch .LBB21_173
.LBB21_63:
	s_mov_b64 s[6:7], -1
	s_mov_b64 s[0:1], 0
	s_mov_b64 s[2:3], 0
.LBB21_64:
	s_and_b64 vcc, exec, s[6:7]
	s_cbranch_vccz .LBB21_69
; %bb.65:
	v_mov_b32_e32 v3, 44
	v_cmp_eq_u16_sdwa s[6:7], v6, v3 src0_sel:BYTE_0 src1_sel:DWORD
	s_mov_b64 s[0:1], -1
	s_and_b64 vcc, exec, s[6:7]
	s_cbranch_vccz .LBB21_69
; %bb.66:
	v_bfe_u32 v3, v2, 23, 8
	s_movk_i32 s0, 0xff
	v_cmp_ne_u32_e32 vcc, s0, v3
	v_mov_b32_e32 v4, 0xff
	s_and_saveexec_b64 s[2:3], vcc
; %bb.67:
	s_mov_b32 s0, 0x3fffff
	v_and_b32_e32 v7, 0x400000, v2
	v_and_or_b32 v3, v2, s0, v3
	v_cmp_ne_u32_e32 vcc, 0, v7
	v_cmp_ne_u32_e64 s[0:1], 0, v3
	s_and_b64 s[0:1], vcc, s[0:1]
	v_lshrrev_b32_e32 v4, 23, v2
	v_cndmask_b32_e64 v3, 0, 1, s[0:1]
	v_add_u32_e32 v4, v4, v3
; %bb.68:
	s_or_b64 exec, exec, s[2:3]
	s_mov_b64 s[2:3], -1
	s_mov_b64 s[0:1], 0
	global_store_byte v[0:1], v4, off
.LBB21_69:
	s_mov_b64 s[6:7], 0
.LBB21_70:
	s_and_b64 vcc, exec, s[6:7]
	s_cbranch_vccz .LBB21_73
; %bb.71:
	v_mov_b32_e32 v3, 29
	v_cmp_eq_u16_sdwa s[6:7], v6, v3 src0_sel:BYTE_0 src1_sel:DWORD
	s_mov_b64 s[0:1], -1
	s_and_b64 vcc, exec, s[6:7]
	s_cbranch_vccz .LBB21_73
; %bb.72:
	v_trunc_f32_e32 v3, v2
	v_mul_f32_e32 v4, 0x2f800000, v3
	v_floor_f32_e32 v4, v4
	v_fmac_f32_e32 v3, 0xcf800000, v4
	v_cvt_u32_f32_e32 v9, v4
	v_cvt_u32_f32_e32 v8, v3
	s_mov_b64 s[2:3], -1
	s_mov_b64 s[0:1], 0
	s_mov_b64 s[6:7], 0
	global_store_dwordx2 v[0:1], v[8:9], off
	s_branch .LBB21_74
.LBB21_73:
	s_mov_b64 s[6:7], 0
.LBB21_74:
	s_and_b64 vcc, exec, s[6:7]
	s_cbranch_vccz .LBB21_90
; %bb.75:
	v_mov_b32_e32 v3, 27
	v_cmp_lt_i16_sdwa s[6:7], v6, v3 src0_sel:BYTE_0 src1_sel:DWORD
	s_mov_b64 s[2:3], -1
	s_and_b64 vcc, exec, s[6:7]
	s_cbranch_vccnz .LBB21_81
; %bb.76:
	v_cmp_gt_i16_sdwa s[6:7], v6, v3 src0_sel:BYTE_0 src1_sel:DWORD
	v_cvt_u32_f32_e32 v3, v2
	s_and_b64 vcc, exec, s[6:7]
	s_cbranch_vccz .LBB21_78
; %bb.77:
	s_mov_b64 s[2:3], 0
	global_store_dword v[0:1], v3, off
.LBB21_78:
	s_andn2_b64 vcc, exec, s[2:3]
	s_cbranch_vccnz .LBB21_80
; %bb.79:
	global_store_short v[0:1], v3, off
.LBB21_80:
	s_mov_b64 s[2:3], 0
.LBB21_81:
	s_andn2_b64 vcc, exec, s[2:3]
	s_cbranch_vccnz .LBB21_89
; %bb.82:
	v_and_b32_e32 v3, 0x7fffffff, v2
	s_mov_b32 s2, 0x43800000
	v_cmp_gt_u32_e32 vcc, s2, v3
	v_mov_b32_e32 v4, 0x80
	s_and_saveexec_b64 s[2:3], vcc
	s_cbranch_execz .LBB21_88
; %bb.83:
	s_mov_b32 s6, 0x3bffffff
	v_cmp_lt_u32_e32 vcc, s6, v3
	s_mov_b64 s[6:7], 0
                                        ; implicit-def: $vgpr3
	s_and_saveexec_b64 s[10:11], vcc
	s_xor_b64 s[10:11], exec, s[10:11]
	s_cbranch_execz .LBB21_341
; %bb.84:
	v_bfe_u32 v3, v2, 20, 1
	s_mov_b32 s12, 0x487ffff
	v_add3_u32 v3, v2, v3, s12
	s_mov_b64 s[6:7], exec
	v_lshrrev_b32_e32 v3, 20, v3
	s_or_saveexec_b64 s[10:11], s[10:11]
                                        ; implicit-def: $sgpr12
	s_xor_b64 exec, exec, s[10:11]
	s_cbranch_execnz .LBB21_342
.LBB21_85:
	s_or_b64 exec, exec, s[10:11]
	v_mov_b32_e32 v4, s12
	s_and_saveexec_b64 s[10:11], s[6:7]
.LBB21_86:
	v_lshrrev_b32_e32 v4, 24, v2
	s_movk_i32 s6, 0x80
	v_and_or_b32 v4, v4, s6, v3
.LBB21_87:
	s_or_b64 exec, exec, s[10:11]
.LBB21_88:
	s_or_b64 exec, exec, s[2:3]
	global_store_byte v[0:1], v4, off
.LBB21_89:
	s_mov_b64 s[2:3], -1
.LBB21_90:
	s_mov_b64 s[6:7], 0
.LBB21_91:
	s_and_b64 vcc, exec, s[6:7]
	s_cbranch_vccz .LBB21_132
; %bb.92:
	v_mov_b32_e32 v3, 22
	v_cmp_gt_i16_sdwa s[10:11], v6, v3 src0_sel:BYTE_0 src1_sel:DWORD
	s_mov_b64 s[6:7], -1
	s_and_b64 vcc, exec, s[10:11]
	s_cbranch_vccz .LBB21_124
; %bb.93:
	v_mov_b32_e32 v3, 24
	v_cmp_lt_i16_sdwa s[6:7], v6, v3 src0_sel:BYTE_0 src1_sel:DWORD
	s_mov_b64 s[2:3], -1
	s_and_b64 vcc, exec, s[6:7]
	s_cbranch_vccnz .LBB21_113
; %bb.94:
	v_cmp_gt_i16_sdwa s[6:7], v6, v3 src0_sel:BYTE_0 src1_sel:DWORD
	s_and_b64 vcc, exec, s[6:7]
	s_cbranch_vccz .LBB21_102
; %bb.95:
	v_and_b32_e32 v3, 0x7fffffff, v2
	s_mov_b32 s2, 0x47800000
	v_cmp_gt_u32_e32 vcc, s2, v3
	v_mov_b32_e32 v4, 0x80
	s_and_saveexec_b64 s[2:3], vcc
	s_cbranch_execz .LBB21_101
; %bb.96:
	s_mov_b32 s6, 0x37ffffff
	v_cmp_lt_u32_e32 vcc, s6, v3
	s_mov_b64 s[6:7], 0
                                        ; implicit-def: $vgpr3
	s_and_saveexec_b64 s[10:11], vcc
	s_xor_b64 s[10:11], exec, s[10:11]
	s_cbranch_execz .LBB21_345
; %bb.97:
	v_bfe_u32 v3, v2, 21, 1
	s_mov_b32 s12, 0x88fffff
	v_add3_u32 v3, v2, v3, s12
	s_mov_b64 s[6:7], exec
	v_lshrrev_b32_e32 v3, 21, v3
	s_or_saveexec_b64 s[10:11], s[10:11]
                                        ; implicit-def: $sgpr12
	s_xor_b64 exec, exec, s[10:11]
	s_cbranch_execnz .LBB21_346
.LBB21_98:
	s_or_b64 exec, exec, s[10:11]
	v_mov_b32_e32 v4, s12
	s_and_saveexec_b64 s[10:11], s[6:7]
.LBB21_99:
	v_lshrrev_b32_e32 v4, 24, v2
	s_movk_i32 s6, 0x80
	v_and_or_b32 v4, v4, s6, v3
.LBB21_100:
	s_or_b64 exec, exec, s[10:11]
.LBB21_101:
	s_or_b64 exec, exec, s[2:3]
	s_mov_b64 s[2:3], 0
	global_store_byte v[0:1], v4, off
.LBB21_102:
	s_and_b64 vcc, exec, s[2:3]
	s_cbranch_vccz .LBB21_112
; %bb.103:
	v_and_b32_e32 v4, 0x7fffffff, v2
	s_mov_b32 s2, 0x43f00000
	v_cmp_gt_u32_e32 vcc, s2, v4
                                        ; implicit-def: $vgpr3
	s_and_saveexec_b64 s[2:3], vcc
	s_xor_b64 s[2:3], exec, s[2:3]
	s_cbranch_execz .LBB21_109
; %bb.104:
	s_mov_b32 s6, 0x3c7fffff
	v_cmp_lt_u32_e32 vcc, s6, v4
                                        ; implicit-def: $vgpr3
	s_and_saveexec_b64 s[6:7], vcc
	s_xor_b64 s[6:7], exec, s[6:7]
; %bb.105:
	v_bfe_u32 v3, v2, 20, 1
	s_mov_b32 s10, 0x407ffff
	v_add3_u32 v3, v2, v3, s10
	v_lshrrev_b32_e32 v4, 20, v3
	v_and_b32_e32 v3, 0xff00000, v3
	s_mov_b32 s10, 0x7f00000
	v_mov_b32_e32 v7, 0x7e
	v_cmp_ne_u32_e32 vcc, s10, v3
	v_cndmask_b32_e32 v3, v7, v4, vcc
; %bb.106:
	s_andn2_saveexec_b64 s[6:7], s[6:7]
; %bb.107:
	s_mov_b32 s10, 0x46800000
	v_add_f32_e64 v3, |v2|, s10
; %bb.108:
	s_or_b64 exec, exec, s[6:7]
                                        ; implicit-def: $vgpr4
.LBB21_109:
	s_andn2_saveexec_b64 s[2:3], s[2:3]
; %bb.110:
	s_mov_b32 s6, 0x7f800000
	v_mov_b32_e32 v3, 0x7e
	v_mov_b32_e32 v7, 0x7f
	v_cmp_lt_u32_e32 vcc, s6, v4
	v_cndmask_b32_e32 v3, v3, v7, vcc
; %bb.111:
	s_or_b64 exec, exec, s[2:3]
	v_lshrrev_b32_e32 v4, 24, v2
	s_movk_i32 s2, 0x80
	v_and_or_b32 v3, v4, s2, v3
	global_store_byte v[0:1], v3, off
.LBB21_112:
	s_mov_b64 s[2:3], 0
.LBB21_113:
	s_andn2_b64 vcc, exec, s[2:3]
	s_cbranch_vccnz .LBB21_123
; %bb.114:
	v_and_b32_e32 v4, 0x7fffffff, v2
	s_mov_b32 s2, 0x47800000
	v_cmp_gt_u32_e32 vcc, s2, v4
                                        ; implicit-def: $vgpr3
	s_and_saveexec_b64 s[2:3], vcc
	s_xor_b64 s[2:3], exec, s[2:3]
	s_cbranch_execz .LBB21_120
; %bb.115:
	s_mov_b32 s6, 0x387fffff
	v_cmp_lt_u32_e32 vcc, s6, v4
                                        ; implicit-def: $vgpr3
	s_and_saveexec_b64 s[6:7], vcc
	s_xor_b64 s[6:7], exec, s[6:7]
; %bb.116:
	v_bfe_u32 v3, v2, 21, 1
	s_mov_b32 s10, 0x80fffff
	v_add3_u32 v3, v2, v3, s10
	v_lshrrev_b32_e32 v3, 21, v3
; %bb.117:
	s_andn2_saveexec_b64 s[6:7], s[6:7]
; %bb.118:
	s_mov_b32 s10, 0x43000000
	v_add_f32_e64 v3, |v2|, s10
; %bb.119:
	s_or_b64 exec, exec, s[6:7]
                                        ; implicit-def: $vgpr4
.LBB21_120:
	s_andn2_saveexec_b64 s[2:3], s[2:3]
; %bb.121:
	s_mov_b32 s6, 0x7f800000
	v_mov_b32_e32 v3, 0x7c
	v_mov_b32_e32 v7, 0x7f
	v_cmp_lt_u32_e32 vcc, s6, v4
	v_cndmask_b32_e32 v3, v3, v7, vcc
; %bb.122:
	s_or_b64 exec, exec, s[2:3]
	v_lshrrev_b32_e32 v4, 24, v2
	s_movk_i32 s2, 0x80
	v_and_or_b32 v3, v4, s2, v3
	global_store_byte v[0:1], v3, off
.LBB21_123:
	s_mov_b64 s[6:7], 0
	s_mov_b64 s[2:3], -1
.LBB21_124:
	s_andn2_b64 vcc, exec, s[6:7]
	s_cbranch_vccnz .LBB21_132
; %bb.125:
	v_mov_b32_e32 v3, 14
	v_cmp_gt_i16_sdwa s[10:11], v6, v3 src0_sel:BYTE_0 src1_sel:DWORD
	s_mov_b64 s[6:7], -1
	s_and_b64 vcc, exec, s[10:11]
	s_cbranch_vccz .LBB21_129
; %bb.126:
	v_mov_b32_e32 v3, 15
	v_cmp_eq_u16_sdwa s[6:7], v6, v3 src0_sel:BYTE_0 src1_sel:DWORD
	s_mov_b64 s[0:1], -1
	s_and_b64 vcc, exec, s[6:7]
	s_cbranch_vccz .LBB21_128
; %bb.127:
	v_bfe_u32 v3, v2, 16, 1
	s_movk_i32 s0, 0x7fff
	v_add3_u32 v3, v2, v3, s0
	v_lshrrev_b32_e32 v3, 16, v3
	v_mov_b32_e32 v4, 0x7fc0
	v_cmp_o_f32_e32 vcc, v2, v2
	v_cndmask_b32_e32 v3, v4, v3, vcc
	global_store_short v[0:1], v3, off
	s_mov_b64 s[2:3], -1
	s_mov_b64 s[0:1], 0
.LBB21_128:
	s_mov_b64 s[6:7], 0
.LBB21_129:
	s_and_b64 vcc, exec, s[6:7]
	s_cbranch_vccz .LBB21_132
; %bb.130:
	v_mov_b32_e32 v3, 11
	v_cmp_eq_u16_sdwa s[6:7], v6, v3 src0_sel:BYTE_0 src1_sel:DWORD
	s_mov_b64 s[0:1], -1
	s_and_b64 vcc, exec, s[6:7]
	s_cbranch_vccz .LBB21_132
; %bb.131:
	v_cmp_neq_f32_e32 vcc, 0, v2
	v_cndmask_b32_e64 v3, 0, 1, vcc
	s_mov_b64 s[2:3], -1
	s_mov_b64 s[0:1], 0
	global_store_byte v[0:1], v3, off
.LBB21_132:
	s_branch .LBB21_51
.LBB21_133:
	v_mov_b32_e32 v3, 5
	v_cmp_lt_i16_sdwa s[6:7], v6, v3 src0_sel:BYTE_0 src1_sel:DWORD
	s_mov_b64 s[2:3], -1
	s_and_b64 vcc, exec, s[6:7]
	s_cbranch_vccnz .LBB21_154
; %bb.134:
	v_mov_b32_e32 v3, 8
	v_cmp_lt_i16_sdwa s[6:7], v6, v3 src0_sel:BYTE_0 src1_sel:DWORD
	s_and_b64 vcc, exec, s[6:7]
	s_cbranch_vccnz .LBB21_144
; %bb.135:
	v_mov_b32_e32 v3, 9
	v_cmp_lt_i16_sdwa s[6:7], v6, v3 src0_sel:BYTE_0 src1_sel:DWORD
	s_and_b64 vcc, exec, s[6:7]
	s_cbranch_vccnz .LBB21_141
; %bb.136:
	v_cmp_gt_i16_sdwa s[6:7], v6, v3 src0_sel:BYTE_0 src1_sel:DWORD
	s_and_b64 vcc, exec, s[6:7]
	s_cbranch_vccz .LBB21_138
; %bb.137:
	v_mov_b32_e32 v10, 0
	v_cvt_f64_f32_e32 v[8:9], v2
	v_mov_b32_e32 v11, v10
	global_store_dwordx4 v[0:1], v[8:11], off
	s_mov_b64 s[2:3], 0
.LBB21_138:
	s_andn2_b64 vcc, exec, s[2:3]
	s_cbranch_vccnz .LBB21_140
; %bb.139:
	v_mov_b32_e32 v3, 0
	global_store_dwordx2 v[0:1], v[2:3], off
.LBB21_140:
	s_mov_b64 s[2:3], 0
.LBB21_141:
	s_andn2_b64 vcc, exec, s[2:3]
	s_cbranch_vccnz .LBB21_143
; %bb.142:
	v_cvt_f16_f32_e32 v3, v2
	global_store_dword v[0:1], v3, off
.LBB21_143:
	s_mov_b64 s[2:3], 0
.LBB21_144:
	s_andn2_b64 vcc, exec, s[2:3]
	s_cbranch_vccnz .LBB21_153
; %bb.145:
	v_mov_b32_e32 v3, 6
	v_cmp_lt_i16_sdwa s[6:7], v6, v3 src0_sel:BYTE_0 src1_sel:DWORD
	s_mov_b64 s[2:3], -1
	s_and_b64 vcc, exec, s[6:7]
	s_cbranch_vccnz .LBB21_151
; %bb.146:
	v_cmp_gt_i16_sdwa s[6:7], v6, v3 src0_sel:BYTE_0 src1_sel:DWORD
	s_and_b64 vcc, exec, s[6:7]
	s_cbranch_vccz .LBB21_148
; %bb.147:
	v_cvt_f64_f32_e32 v[8:9], v2
	global_store_dwordx2 v[0:1], v[8:9], off
	s_mov_b64 s[2:3], 0
.LBB21_148:
	s_andn2_b64 vcc, exec, s[2:3]
	s_cbranch_vccnz .LBB21_150
; %bb.149:
	global_store_dword v[0:1], v2, off
.LBB21_150:
	s_mov_b64 s[2:3], 0
.LBB21_151:
	s_andn2_b64 vcc, exec, s[2:3]
	s_cbranch_vccnz .LBB21_153
; %bb.152:
	v_cvt_f16_f32_e32 v3, v2
	global_store_short v[0:1], v3, off
.LBB21_153:
	s_mov_b64 s[2:3], 0
.LBB21_154:
	s_andn2_b64 vcc, exec, s[2:3]
	s_cbranch_vccnz .LBB21_170
; %bb.155:
	v_mov_b32_e32 v3, 2
	v_cmp_lt_i16_sdwa s[6:7], v6, v3 src0_sel:BYTE_0 src1_sel:DWORD
	s_mov_b64 s[2:3], -1
	s_and_b64 vcc, exec, s[6:7]
	s_cbranch_vccnz .LBB21_165
; %bb.156:
	v_mov_b32_e32 v3, 3
	v_cmp_lt_i16_sdwa s[6:7], v6, v3 src0_sel:BYTE_0 src1_sel:DWORD
	s_and_b64 vcc, exec, s[6:7]
	s_cbranch_vccnz .LBB21_162
; %bb.157:
	v_cmp_gt_i16_sdwa s[6:7], v6, v3 src0_sel:BYTE_0 src1_sel:DWORD
	s_and_b64 vcc, exec, s[6:7]
	s_cbranch_vccz .LBB21_159
; %bb.158:
	v_trunc_f32_e32 v3, v2
	s_mov_b32 s2, 0x2f800000
	v_mul_f32_e64 v4, |v3|, s2
	v_floor_f32_e32 v4, v4
	s_mov_b32 s2, 0xcf800000
	v_cvt_u32_f32_e32 v7, v4
	v_fma_f32 v4, v4, s2, |v3|
	v_cvt_u32_f32_e32 v4, v4
	v_ashrrev_i32_e32 v3, 31, v3
	v_xor_b32_e32 v7, v7, v3
	s_mov_b64 s[2:3], 0
	v_xor_b32_e32 v4, v4, v3
	v_sub_co_u32_e32 v8, vcc, v4, v3
	v_subb_co_u32_e32 v9, vcc, v7, v3, vcc
	global_store_dwordx2 v[0:1], v[8:9], off
.LBB21_159:
	s_andn2_b64 vcc, exec, s[2:3]
	s_cbranch_vccnz .LBB21_161
; %bb.160:
	v_cvt_i32_f32_e32 v3, v2
	global_store_dword v[0:1], v3, off
.LBB21_161:
	s_mov_b64 s[2:3], 0
.LBB21_162:
	s_andn2_b64 vcc, exec, s[2:3]
	s_cbranch_vccnz .LBB21_164
; %bb.163:
	v_cvt_i32_f32_e32 v3, v2
	global_store_short v[0:1], v3, off
.LBB21_164:
	s_mov_b64 s[2:3], 0
.LBB21_165:
	s_andn2_b64 vcc, exec, s[2:3]
	s_cbranch_vccnz .LBB21_170
; %bb.166:
	v_mov_b32_e32 v3, 0
	v_cmp_gt_i16_sdwa s[6:7], v6, v3 src0_sel:BYTE_0 src1_sel:DWORD
	s_mov_b64 s[2:3], -1
	s_and_b64 vcc, exec, s[6:7]
	s_cbranch_vccz .LBB21_168
; %bb.167:
	v_cvt_i32_f32_e32 v3, v2
	s_mov_b64 s[2:3], 0
	global_store_byte v[0:1], v3, off
.LBB21_168:
	s_andn2_b64 vcc, exec, s[2:3]
	s_cbranch_vccnz .LBB21_170
; %bb.169:
	v_trunc_f32_e32 v2, v2
	s_mov_b32 s2, 0x2f800000
	v_mul_f32_e64 v3, |v2|, s2
	v_floor_f32_e32 v3, v3
	s_mov_b32 s2, 0xcf800000
	v_fma_f32 v3, v3, s2, |v2|
	v_cvt_u32_f32_e32 v3, v3
	v_ashrrev_i32_e32 v2, 31, v2
	v_xor_b32_e32 v3, v3, v2
	v_sub_u32_e32 v2, v3, v2
	global_store_byte v[0:1], v2, off
.LBB21_170:
.LBB21_171:
	v_add_u32_e32 v13, 0x80, v13
	s_mov_b64 s[2:3], -1
	s_branch .LBB21_282
.LBB21_172:
	s_mov_b64 s[8:9], -1
                                        ; implicit-def: $vgpr1
.LBB21_173:
	s_mov_b64 s[2:3], 0
.LBB21_174:
	s_and_b64 vcc, exec, s[2:3]
	s_cbranch_vccz .LBB21_178
; %bb.175:
	v_cmp_eq_u16_e32 vcc, 29, v5
	s_cbranch_vccz .LBB21_177
; %bb.176:
	global_load_dwordx2 v[8:9], v[2:3], off
	s_mov_b64 s[0:1], -1
	s_mov_b64 s[8:9], 0
	s_mov_b64 s[2:3], 0
	s_waitcnt vmcnt(0)
	v_ffbh_u32_e32 v1, v9
	v_min_u32_e32 v1, 32, v1
	v_lshlrev_b64 v[8:9], v1, v[8:9]
	v_min_u32_e32 v4, 1, v8
	v_or_b32_e32 v4, v9, v4
	v_cvt_f32_u32_e32 v4, v4
	v_sub_u32_e32 v1, 32, v1
	v_ldexp_f32 v1, v4, v1
	s_branch .LBB21_179
.LBB21_177:
	s_mov_b64 s[8:9], -1
                                        ; implicit-def: $vgpr1
.LBB21_178:
	s_mov_b64 s[2:3], 0
.LBB21_179:
	s_and_b64 vcc, exec, s[2:3]
	s_cbranch_vccz .LBB21_197
; %bb.180:
	v_cmp_gt_i16_e32 vcc, 27, v5
	s_cbranch_vccnz .LBB21_183
; %bb.181:
	v_cmp_lt_i16_e32 vcc, 27, v5
	s_cbranch_vccz .LBB21_184
; %bb.182:
	global_load_dword v1, v[2:3], off
	s_mov_b64 s[0:1], 0
	s_waitcnt vmcnt(0)
	v_cvt_f32_u32_e32 v1, v1
	s_branch .LBB21_185
.LBB21_183:
	s_mov_b64 s[0:1], -1
                                        ; implicit-def: $vgpr1
	s_branch .LBB21_188
.LBB21_184:
	s_mov_b64 s[0:1], -1
                                        ; implicit-def: $vgpr1
.LBB21_185:
	s_andn2_b64 vcc, exec, s[0:1]
	s_cbranch_vccnz .LBB21_187
; %bb.186:
	global_load_ushort v1, v[2:3], off
	s_waitcnt vmcnt(0)
	v_cvt_f32_u32_e32 v1, v1
.LBB21_187:
	s_mov_b64 s[0:1], 0
.LBB21_188:
	s_andn2_b64 vcc, exec, s[0:1]
	s_cbranch_vccnz .LBB21_196
; %bb.189:
	global_load_ubyte v4, v[2:3], off
	s_movk_i32 s0, 0x7f
                                        ; implicit-def: $sgpr10
	s_waitcnt vmcnt(0)
	v_cmp_lt_i16_e32 vcc, s0, v4
	s_mov_b64 s[0:1], 0
	s_and_saveexec_b64 s[2:3], vcc
	s_xor_b64 s[2:3], exec, s[2:3]
	s_cbranch_execz .LBB21_209
; %bb.190:
	s_movk_i32 s0, 0x80
	v_cmp_eq_u16_e32 vcc, s0, v4
	s_mov_b64 s[0:1], -1
                                        ; implicit-def: $sgpr10
	s_and_saveexec_b64 s[6:7], vcc
; %bb.191:
	s_mov_b32 s10, 0x7f800001
	s_xor_b64 s[0:1], exec, -1
; %bb.192:
	s_or_b64 exec, exec, s[6:7]
	s_and_b64 s[0:1], s[0:1], exec
	s_or_saveexec_b64 s[2:3], s[2:3]
	v_mov_b32_e32 v1, s10
	s_xor_b64 exec, exec, s[2:3]
	s_cbranch_execnz .LBB21_210
.LBB21_193:
	s_or_b64 exec, exec, s[2:3]
	s_and_saveexec_b64 s[2:3], s[0:1]
	s_cbranch_execz .LBB21_195
.LBB21_194:
	v_lshlrev_b32_e32 v1, 24, v4
	v_and_b32_e32 v4, 0xffff, v4
	v_and_b32_e32 v7, 7, v4
	v_ffbh_u32_e32 v9, v7
	v_min_u32_e32 v9, 32, v9
	v_subrev_u32_e32 v10, 28, v9
	v_bfe_u32 v8, v4, 3, 4
	v_lshlrev_b32_e32 v4, v10, v4
	v_sub_u32_e32 v9, 29, v9
	v_and_b32_e32 v4, 7, v4
	v_cmp_eq_u32_e32 vcc, 0, v8
	v_cndmask_b32_e32 v8, v8, v9, vcc
	v_cndmask_b32_e32 v4, v7, v4, vcc
	v_mov_b32_e32 v7, 0x3b800000
	v_lshlrev_b32_e32 v4, 20, v4
	v_and_b32_e32 v1, 0x80000000, v1
	v_lshl_add_u32 v7, v8, 23, v7
	v_or3_b32 v1, v1, v7, v4
.LBB21_195:
	s_or_b64 exec, exec, s[2:3]
.LBB21_196:
	s_mov_b64 s[0:1], -1
.LBB21_197:
	s_branch .LBB21_232
.LBB21_198:
	v_cmp_lt_i16_e32 vcc, 22, v5
	s_cbranch_vccz .LBB21_208
; %bb.199:
	v_cmp_gt_i16_e32 vcc, 24, v5
	s_cbranch_vccnz .LBB21_211
; %bb.200:
	v_cmp_lt_i16_e32 vcc, 24, v5
	s_cbranch_vccz .LBB21_212
; %bb.201:
	global_load_ubyte v4, v[2:3], off
	s_movk_i32 s0, 0x7f
                                        ; implicit-def: $sgpr10
	s_waitcnt vmcnt(0)
	v_cmp_lt_i16_e32 vcc, s0, v4
	s_mov_b64 s[0:1], 0
	s_and_saveexec_b64 s[2:3], vcc
	s_xor_b64 s[2:3], exec, s[2:3]
	s_cbranch_execz .LBB21_224
; %bb.202:
	s_movk_i32 s0, 0x80
	v_cmp_eq_u16_e32 vcc, s0, v4
	s_mov_b64 s[0:1], -1
                                        ; implicit-def: $sgpr10
	s_and_saveexec_b64 s[6:7], vcc
; %bb.203:
	s_mov_b32 s10, 0x7f800001
	s_xor_b64 s[0:1], exec, -1
; %bb.204:
	s_or_b64 exec, exec, s[6:7]
	s_and_b64 s[0:1], s[0:1], exec
	s_or_saveexec_b64 s[2:3], s[2:3]
	v_mov_b32_e32 v1, s10
	s_xor_b64 exec, exec, s[2:3]
	s_cbranch_execnz .LBB21_225
.LBB21_205:
	s_or_b64 exec, exec, s[2:3]
	s_and_saveexec_b64 s[2:3], s[0:1]
	s_cbranch_execz .LBB21_207
.LBB21_206:
	v_lshlrev_b32_e32 v1, 24, v4
	v_and_b32_e32 v4, 0xffff, v4
	v_and_b32_e32 v7, 3, v4
	v_ffbh_u32_e32 v9, v7
	v_min_u32_e32 v9, 32, v9
	v_subrev_u32_e32 v10, 29, v9
	v_bfe_u32 v8, v4, 2, 5
	v_lshlrev_b32_e32 v4, v10, v4
	v_sub_u32_e32 v9, 30, v9
	v_and_b32_e32 v4, 3, v4
	v_cmp_eq_u32_e32 vcc, 0, v8
	v_cndmask_b32_e32 v8, v8, v9, vcc
	v_cndmask_b32_e32 v4, v7, v4, vcc
	v_mov_b32_e32 v7, 0x37800000
	v_lshlrev_b32_e32 v4, 21, v4
	v_and_b32_e32 v1, 0x80000000, v1
	v_lshl_add_u32 v7, v8, 23, v7
	v_or3_b32 v1, v1, v7, v4
.LBB21_207:
	s_or_b64 exec, exec, s[2:3]
	s_mov_b64 s[0:1], 0
	s_branch .LBB21_213
.LBB21_208:
	s_mov_b64 s[2:3], -1
                                        ; implicit-def: $vgpr1
	s_branch .LBB21_219
.LBB21_209:
	s_or_saveexec_b64 s[2:3], s[2:3]
	v_mov_b32_e32 v1, s10
	s_xor_b64 exec, exec, s[2:3]
	s_cbranch_execz .LBB21_193
.LBB21_210:
	v_cmp_ne_u16_e32 vcc, 0, v4
	s_andn2_b64 s[0:1], s[0:1], exec
	s_and_b64 s[6:7], vcc, exec
	v_mov_b32_e32 v1, 0
	s_or_b64 s[0:1], s[0:1], s[6:7]
	s_or_b64 exec, exec, s[2:3]
	s_and_saveexec_b64 s[2:3], s[0:1]
	s_cbranch_execnz .LBB21_194
	s_branch .LBB21_195
.LBB21_211:
	s_mov_b64 s[0:1], -1
                                        ; implicit-def: $vgpr1
	s_branch .LBB21_216
.LBB21_212:
	s_mov_b64 s[0:1], -1
                                        ; implicit-def: $vgpr1
.LBB21_213:
	s_and_b64 vcc, exec, s[0:1]
	s_cbranch_vccz .LBB21_215
; %bb.214:
	global_load_ubyte v1, v[2:3], off
	s_mov_b32 s0, 0x7f800000
	s_waitcnt vmcnt(0)
	v_lshlrev_b32_e32 v1, 24, v1
	v_and_b32_e32 v4, 0x7f000000, v1
	v_ffbh_u32_e32 v7, v4
	v_min_u32_e32 v7, 32, v7
	v_sub_u32_e64 v7, v7, 4 clamp
	v_lshlrev_b32_e32 v9, v7, v4
	v_lshlrev_b32_e32 v7, 23, v7
	v_lshrrev_b32_e32 v9, 4, v9
	v_add_u32_e32 v8, 0x1000000, v4
	v_sub_u32_e32 v7, v9, v7
	v_ashrrev_i32_e32 v8, 8, v8
	v_add_u32_e32 v7, 0x3c000000, v7
	v_and_or_b32 v7, v8, s0, v7
	v_cmp_ne_u32_e32 vcc, 0, v4
	v_cndmask_b32_e32 v4, 0, v7, vcc
	s_brev_b32 s0, 1
	v_and_or_b32 v1, v1, s0, v4
.LBB21_215:
	s_mov_b64 s[0:1], 0
.LBB21_216:
	s_andn2_b64 vcc, exec, s[0:1]
	s_cbranch_vccnz .LBB21_218
; %bb.217:
	global_load_ubyte v1, v[2:3], off
	s_movk_i32 s0, 0x7f00
	s_brev_b32 s1, 16
	s_waitcnt vmcnt(0)
	v_lshlrev_b16_e32 v4, 8, v1
	v_lshlrev_b32_e32 v1, 25, v1
	v_lshrrev_b32_e32 v7, 4, v1
	v_and_or_b32 v8, v4, s0, 0.5
	v_or_b32_e32 v7, 0x70000000, v7
	v_add_f32_e32 v8, -0.5, v8
	v_mul_f32_e32 v7, 0x7800000, v7
	v_cmp_gt_u32_e32 vcc, s1, v1
	v_bfe_i32 v4, v4, 0, 16
	v_cndmask_b32_e32 v1, v7, v8, vcc
	s_brev_b32 s0, 1
	v_and_or_b32 v1, v4, s0, v1
.LBB21_218:
	s_mov_b64 s[2:3], 0
	s_mov_b64 s[0:1], -1
.LBB21_219:
	s_andn2_b64 vcc, exec, s[2:3]
	s_cbranch_vccnz .LBB21_232
; %bb.220:
	v_cmp_lt_i16_e32 vcc, 14, v5
	s_cbranch_vccz .LBB21_223
; %bb.221:
	v_cmp_eq_u16_e32 vcc, 15, v5
	s_cbranch_vccz .LBB21_226
; %bb.222:
	global_load_ushort v1, v[2:3], off
	s_mov_b64 s[0:1], -1
	s_mov_b64 s[8:9], 0
	s_waitcnt vmcnt(0)
	v_lshlrev_b32_e32 v1, 16, v1
	s_branch .LBB21_227
.LBB21_223:
	s_mov_b64 s[2:3], -1
                                        ; implicit-def: $vgpr1
	s_branch .LBB21_228
.LBB21_224:
	s_or_saveexec_b64 s[2:3], s[2:3]
	v_mov_b32_e32 v1, s10
	s_xor_b64 exec, exec, s[2:3]
	s_cbranch_execz .LBB21_205
.LBB21_225:
	v_cmp_ne_u16_e32 vcc, 0, v4
	s_andn2_b64 s[0:1], s[0:1], exec
	s_and_b64 s[6:7], vcc, exec
	v_mov_b32_e32 v1, 0
	s_or_b64 s[0:1], s[0:1], s[6:7]
	s_or_b64 exec, exec, s[2:3]
	s_and_saveexec_b64 s[2:3], s[0:1]
	s_cbranch_execnz .LBB21_206
	s_branch .LBB21_207
.LBB21_226:
	s_mov_b64 s[8:9], -1
                                        ; implicit-def: $vgpr1
.LBB21_227:
	s_mov_b64 s[2:3], 0
.LBB21_228:
	s_and_b64 vcc, exec, s[2:3]
	s_cbranch_vccz .LBB21_232
; %bb.229:
	v_cmp_eq_u16_e32 vcc, 11, v5
	s_cbranch_vccz .LBB21_231
; %bb.230:
	global_load_ubyte v1, v[2:3], off
	s_mov_b64 s[0:1], -1
	s_mov_b64 s[8:9], 0
	s_waitcnt vmcnt(0)
	v_cmp_ne_u16_e32 vcc, 0, v1
	v_cndmask_b32_e64 v1, 0, 1.0, vcc
	s_branch .LBB21_232
.LBB21_231:
	s_mov_b64 s[8:9], -1
                                        ; implicit-def: $vgpr1
.LBB21_232:
	s_branch .LBB21_25
.LBB21_233:
	v_cmp_gt_i16_e32 vcc, 5, v5
	s_cbranch_vccnz .LBB21_238
; %bb.234:
	v_cmp_gt_i16_e32 vcc, 8, v5
	s_cbranch_vccnz .LBB21_239
; %bb.235:
	;; [unrolled: 3-line block ×3, first 2 shown]
	v_cmp_lt_i16_e32 vcc, 9, v5
	s_cbranch_vccz .LBB21_241
; %bb.237:
	global_load_dwordx2 v[8:9], v[2:3], off
	s_mov_b64 s[0:1], 0
	s_waitcnt vmcnt(0)
	v_cvt_f32_f64_e32 v1, v[8:9]
	s_branch .LBB21_242
.LBB21_238:
                                        ; implicit-def: $vgpr1
	s_branch .LBB21_260
.LBB21_239:
	s_mov_b64 s[0:1], -1
                                        ; implicit-def: $vgpr1
	s_branch .LBB21_248
.LBB21_240:
	s_mov_b64 s[0:1], -1
                                        ; implicit-def: $vgpr1
	s_branch .LBB21_245
.LBB21_241:
	s_mov_b64 s[0:1], -1
                                        ; implicit-def: $vgpr1
.LBB21_242:
	s_andn2_b64 vcc, exec, s[0:1]
	s_cbranch_vccnz .LBB21_244
; %bb.243:
	global_load_dword v1, v[2:3], off
.LBB21_244:
	s_mov_b64 s[0:1], 0
.LBB21_245:
	s_andn2_b64 vcc, exec, s[0:1]
	s_cbranch_vccnz .LBB21_247
; %bb.246:
	global_load_dword v1, v[2:3], off
	s_waitcnt vmcnt(0)
	v_cvt_f32_f16_e32 v1, v1
.LBB21_247:
	s_mov_b64 s[0:1], 0
.LBB21_248:
	s_andn2_b64 vcc, exec, s[0:1]
	s_cbranch_vccnz .LBB21_259
; %bb.249:
	v_cmp_gt_i16_e32 vcc, 6, v5
	s_cbranch_vccnz .LBB21_252
; %bb.250:
	v_cmp_lt_i16_e32 vcc, 6, v5
	s_cbranch_vccz .LBB21_253
; %bb.251:
	global_load_dwordx2 v[8:9], v[2:3], off
	s_mov_b64 s[0:1], 0
	s_waitcnt vmcnt(0)
	v_cvt_f32_f64_e32 v1, v[8:9]
	s_branch .LBB21_254
.LBB21_252:
	s_mov_b64 s[0:1], -1
                                        ; implicit-def: $vgpr1
	s_branch .LBB21_257
.LBB21_253:
	s_mov_b64 s[0:1], -1
                                        ; implicit-def: $vgpr1
.LBB21_254:
	s_andn2_b64 vcc, exec, s[0:1]
	s_cbranch_vccnz .LBB21_256
; %bb.255:
	global_load_dword v1, v[2:3], off
.LBB21_256:
	s_mov_b64 s[0:1], 0
.LBB21_257:
	s_andn2_b64 vcc, exec, s[0:1]
	s_cbranch_vccnz .LBB21_259
; %bb.258:
	global_load_ushort v1, v[2:3], off
	s_waitcnt vmcnt(0)
	v_cvt_f32_f16_e32 v1, v1
.LBB21_259:
	s_cbranch_execnz .LBB21_279
.LBB21_260:
	v_cmp_gt_i16_e32 vcc, 2, v5
	s_cbranch_vccnz .LBB21_264
; %bb.261:
	v_cmp_gt_i16_e32 vcc, 3, v5
	s_cbranch_vccnz .LBB21_265
; %bb.262:
	v_cmp_lt_i16_e32 vcc, 3, v5
	s_cbranch_vccz .LBB21_266
; %bb.263:
	global_load_dwordx2 v[8:9], v[2:3], off
	s_mov_b64 s[0:1], 0
	s_waitcnt vmcnt(0)
	v_xor_b32_e32 v4, v8, v9
	v_ffbh_i32_e32 v1, v9
	v_ashrrev_i32_e32 v4, 31, v4
	v_add_u32_e32 v1, -1, v1
	v_add_u32_e32 v4, 32, v4
	v_min_u32_e32 v1, v1, v4
	v_lshlrev_b64 v[8:9], v1, v[8:9]
	v_min_u32_e32 v4, 1, v8
	v_or_b32_e32 v4, v9, v4
	v_cvt_f32_i32_e32 v4, v4
	v_sub_u32_e32 v1, 32, v1
	v_ldexp_f32 v1, v4, v1
	s_branch .LBB21_267
.LBB21_264:
	s_mov_b64 s[0:1], -1
                                        ; implicit-def: $vgpr1
	s_branch .LBB21_273
.LBB21_265:
	s_mov_b64 s[0:1], -1
                                        ; implicit-def: $vgpr1
	s_branch .LBB21_270
.LBB21_266:
	s_mov_b64 s[0:1], -1
                                        ; implicit-def: $vgpr1
.LBB21_267:
	s_andn2_b64 vcc, exec, s[0:1]
	s_cbranch_vccnz .LBB21_269
; %bb.268:
	global_load_dword v1, v[2:3], off
	s_waitcnt vmcnt(0)
	v_cvt_f32_i32_e32 v1, v1
.LBB21_269:
	s_mov_b64 s[0:1], 0
.LBB21_270:
	s_andn2_b64 vcc, exec, s[0:1]
	s_cbranch_vccnz .LBB21_272
; %bb.271:
	global_load_sshort v1, v[2:3], off
	s_waitcnt vmcnt(0)
	v_cvt_f32_i32_e32 v1, v1
.LBB21_272:
	s_mov_b64 s[0:1], 0
.LBB21_273:
	s_andn2_b64 vcc, exec, s[0:1]
	s_cbranch_vccnz .LBB21_279
; %bb.274:
	v_cmp_lt_i16_e32 vcc, 0, v5
	s_cbranch_vccz .LBB21_276
; %bb.275:
	global_load_sbyte v1, v[2:3], off
	s_mov_b64 s[0:1], 0
	s_waitcnt vmcnt(0)
	v_cvt_f32_i32_e32 v1, v1
	s_branch .LBB21_277
.LBB21_276:
	s_mov_b64 s[0:1], -1
                                        ; implicit-def: $vgpr1
.LBB21_277:
	s_andn2_b64 vcc, exec, s[0:1]
	s_cbranch_vccnz .LBB21_279
; %bb.278:
	global_load_ubyte v1, v[2:3], off
	s_waitcnt vmcnt(0)
	v_cvt_f32_ubyte0_e32 v1, v1
.LBB21_279:
	s_branch .LBB21_26
.LBB21_280:
	s_mov_b64 s[0:1], 0
.LBB21_281:
	s_mov_b64 s[2:3], 0
                                        ; implicit-def: $vgpr13
.LBB21_282:
	s_and_b64 s[54:55], s[0:1], exec
	s_and_b64 s[56:57], s[8:9], exec
	s_orn2_b64 s[2:3], s[2:3], exec
.LBB21_283:
	s_or_b64 exec, exec, s[58:59]
	s_mov_b64 s[6:7], 0
	s_mov_b64 s[0:1], 0
                                        ; implicit-def: $vgpr2_vgpr3
                                        ; implicit-def: $vgpr0
                                        ; implicit-def: $vgpr7
	s_and_saveexec_b64 s[58:59], s[2:3]
	s_cbranch_execz .LBB21_291
; %bb.284:
	v_cmp_gt_i32_e32 vcc, s72, v13
	s_mov_b64 s[0:1], -1
	s_mov_b64 s[60:61], s[56:57]
	s_mov_b64 s[62:63], s[54:55]
	s_and_saveexec_b64 s[64:65], vcc
	s_cbranch_execz .LBB21_576
; %bb.285:
	s_andn2_b64 vcc, exec, s[42:43]
	s_cbranch_vccnz .LBB21_294
; %bb.286:
	s_mov_b32 s6, 0
	s_andn2_b64 vcc, exec, s[52:53]
	v_mov_b32_e32 v2, 0
	v_mov_b32_e32 v0, 0
	s_cbranch_vccnz .LBB21_300
; %bb.287:
	s_add_i32 s66, s73, 1
	s_cmp_eq_u32 s74, 2
	s_cbranch_scc1 .LBB21_295
; %bb.288:
	s_and_b32 s6, s66, 28
	s_mov_b32 s7, 0
	v_mov_b32_e32 v0, 0
	s_mov_b64 s[60:61], s[34:35]
	s_mov_b64 s[62:63], s[50:51]
	v_mov_b32_e32 v3, v13
	v_mov_b32_e32 v2, 0
.LBB21_289:                             ; =>This Inner Loop Header: Depth=1
	s_load_dwordx8 s[16:23], s[60:61], 0x4
	s_load_dwordx4 s[0:3], s[60:61], 0x24
	s_load_dwordx8 s[8:15], s[62:63], 0x0
	s_add_u32 s60, s60, 48
	s_addc_u32 s61, s61, 0
	s_waitcnt vmcnt(0) lgkmcnt(0)
	v_mul_hi_u32 v1, s17, v3
	v_add_u32_e32 v1, v3, v1
	v_lshrrev_b32_e32 v1, s18, v1
	v_mul_lo_u32 v4, v1, s16
	v_mul_hi_u32 v7, s20, v1
	v_sub_u32_e32 v3, v3, v4
	v_add_u32_e32 v4, v1, v7
	v_lshrrev_b32_e32 v4, s21, v4
	v_mul_lo_u32 v8, v4, s19
	v_mul_hi_u32 v9, s23, v4
	v_sub_u32_e32 v1, v1, v8
	v_add_u32_e32 v8, v4, v9
	v_mul_lo_u32 v7, v3, s9
	v_mul_lo_u32 v3, v3, s8
	v_mul_lo_u32 v9, v1, s11
	v_mul_lo_u32 v1, v1, s10
	v_lshrrev_b32_e32 v8, s0, v8
	v_add3_u32 v0, v3, v0, v1
	v_mul_hi_u32 v3, s2, v8
	v_add_u32_e32 v3, v8, v3
	v_lshrrev_b32_e32 v3, s3, v3
	s_add_i32 s7, s7, 4
	v_add3_u32 v1, v7, v2, v9
	v_mul_lo_u32 v2, v8, s22
	v_mul_lo_u32 v7, v3, s1
	s_add_u32 s62, s62, 32
	v_sub_u32_e32 v2, v4, v2
	v_sub_u32_e32 v7, v8, v7
	s_addc_u32 s63, s63, 0
	v_mul_lo_u32 v4, v2, s12
	v_mul_lo_u32 v2, v2, s13
	;; [unrolled: 1-line block ×4, first 2 shown]
	s_cmp_eq_u32 s6, s7
	v_add3_u32 v2, v2, v1, v7
	v_add3_u32 v0, v4, v0, v8
	s_cbranch_scc0 .LBB21_289
; %bb.290:
	v_mov_b32_e32 v1, v2
	s_branch .LBB21_296
.LBB21_291:
	s_or_b64 exec, exec, s[58:59]
	s_mov_b64 s[8:9], 0
	s_and_saveexec_b64 s[2:3], s[56:57]
	s_cbranch_execnz .LBB21_970
.LBB21_292:
	s_or_b64 exec, exec, s[2:3]
	s_and_saveexec_b64 s[2:3], s[62:63]
	s_xor_b64 s[2:3], exec, s[2:3]
	s_cbranch_execz .LBB21_971
.LBB21_293:
	global_load_ubyte v1, v[2:3], off
	s_or_b64 s[0:1], s[0:1], exec
	s_waitcnt vmcnt(0)
	v_cmp_ne_u16_e32 vcc, 0, v1
	v_cndmask_b32_e64 v7, 0, 1.0, vcc
	s_or_b64 exec, exec, s[2:3]
	s_and_saveexec_b64 s[2:3], s[6:7]
	s_cbranch_execz .LBB21_1017
	s_branch .LBB21_972
.LBB21_294:
                                        ; implicit-def: $vgpr2
                                        ; implicit-def: $vgpr0
	s_andn2_b64 vcc, exec, s[0:1]
	s_cbranch_vccz .LBB21_301
	s_branch .LBB21_303
.LBB21_295:
	s_mov_b32 s7, s6
	s_waitcnt vmcnt(0)
	v_pk_mov_b32 v[0:1], s[6:7], s[6:7] op_sel:[0,1]
                                        ; implicit-def: $vgpr2
	v_mov_b32_e32 v3, v13
.LBB21_296:
	s_and_b32 s7, s66, 3
	s_cmp_eq_u32 s7, 0
	s_cbranch_scc1 .LBB21_300
; %bb.297:
	s_lshl_b32 s0, s6, 3
	s_add_u32 s0, s0, s34
	s_addc_u32 s1, s35, 0
	s_add_u32 s0, s0, 0xc4
	s_addc_u32 s1, s1, 0
	s_mul_i32 s2, s6, 12
	s_add_u32 s2, s34, s2
	s_addc_u32 s3, s35, 0
.LBB21_298:                             ; =>This Inner Loop Header: Depth=1
	s_load_dwordx2 s[8:9], s[2:3], 0x4
	s_load_dword s6, s[2:3], 0xc
	s_load_dwordx2 s[10:11], s[0:1], 0x0
	v_mov_b32_e32 v2, v1
	s_add_u32 s2, s2, 12
	s_waitcnt lgkmcnt(0)
	v_mul_hi_u32 v1, s9, v3
	v_add_u32_e32 v1, v3, v1
	v_lshrrev_b32_e32 v1, s6, v1
	s_addc_u32 s3, s3, 0
	v_mul_lo_u32 v4, v1, s8
	s_add_u32 s0, s0, 8
	v_sub_u32_e32 v4, v3, v4
	v_mov_b32_e32 v3, v1
	s_addc_u32 s1, s1, 0
	s_add_i32 s7, s7, -1
	v_mad_u64_u32 v[8:9], s[8:9], v4, s11, v[2:3]
	v_mad_u64_u32 v[0:1], s[8:9], v4, s10, v[0:1]
	s_cmp_lg_u32 s7, 0
	v_mov_b32_e32 v1, v8
	s_cbranch_scc1 .LBB21_298
; %bb.299:
	v_mov_b32_e32 v2, v1
.LBB21_300:
	s_cbranch_execnz .LBB21_303
.LBB21_301:
	s_waitcnt lgkmcnt(0)
	v_mul_hi_u32 v0, s37, v13
	v_add_u32_e32 v0, v13, v0
	s_waitcnt vmcnt(0)
	v_lshrrev_b32_e32 v1, s38, v0
	v_mul_lo_u32 v0, v1, s36
	v_sub_u32_e32 v0, v13, v0
	v_mul_lo_u32 v2, v0, s29
	s_andn2_b64 vcc, exec, s[48:49]
	v_mul_lo_u32 v0, v0, s28
	s_cbranch_vccnz .LBB21_303
; %bb.302:
	v_mul_hi_u32 v3, s46, v1
	v_add_u32_e32 v3, v1, v3
	v_lshrrev_b32_e32 v3, s47, v3
	v_mul_lo_u32 v3, v3, s39
	v_sub_u32_e32 v3, v1, v3
	v_mad_u64_u32 v[0:1], s[0:1], v3, s30, v[0:1]
	v_mad_u64_u32 v[2:3], s[0:1], v3, s31, v[2:3]
.LBB21_303:
	s_waitcnt vmcnt(0) lgkmcnt(0)
	v_mov_b32_e32 v1, s27
	v_add_co_u32_e32 v2, vcc, s26, v2
	v_addc_co_u32_e32 v3, vcc, 0, v1, vcc
	v_cmp_gt_i16_e32 vcc, 11, v5
	s_cbranch_vccnz .LBB21_310
; %bb.304:
	v_cmp_lt_i16_e32 vcc, 25, v5
	s_cbranch_vccz .LBB21_321
; %bb.305:
	v_cmp_lt_i16_e32 vcc, 28, v5
	s_cbranch_vccz .LBB21_337
	;; [unrolled: 3-line block ×4, first 2 shown]
; %bb.308:
	v_cmp_eq_u16_e32 vcc, 46, v5
	s_mov_b64 s[2:3], 0
	s_cbranch_vccz .LBB21_347
; %bb.309:
	global_load_dword v1, v[2:3], off
	s_mov_b64 s[0:1], -1
	s_mov_b64 s[8:9], 0
	s_waitcnt vmcnt(0)
	v_lshlrev_b32_e32 v1, 16, v1
	s_branch .LBB21_348
.LBB21_310:
	s_mov_b64 s[0:1], 0
                                        ; implicit-def: $vgpr1
	s_mov_b64 s[8:9], s[56:57]
	s_cbranch_execnz .LBB21_525
.LBB21_311:
	s_andn2_b64 vcc, exec, s[0:1]
	s_cbranch_vccnz .LBB21_573
.LBB21_312:
	s_waitcnt vmcnt(0)
	v_cmp_gt_f32_e32 vcc, 0, v1
	v_cndmask_b32_e64 v1, v1, -v1, vcc
	s_mov_b32 s0, 0x40a00000
	v_cmp_ge_f32_e32 vcc, s0, v1
                                        ; implicit-def: $vgpr2
	s_and_saveexec_b64 s[0:1], vcc
	s_xor_b64 s[0:1], exec, s[0:1]
	s_cbranch_execz .LBB21_318
; %bb.313:
	s_mov_b32 s2, 0x3727c5ac
	v_cmp_ngt_f32_e32 vcc, s2, v1
	v_mul_f32_e32 v4, v1, v1
                                        ; implicit-def: $vgpr2
	s_and_saveexec_b64 s[2:3], vcc
	s_xor_b64 s[2:3], exec, s[2:3]
	s_cbranch_execz .LBB21_315
; %bb.314:
	v_mov_b32_e32 v1, 0x43f9c815
	v_fmac_f32_e32 v1, 0, v4
	v_mov_b32_e32 v3, 0x4829b65a
	v_fmac_f32_e32 v3, v4, v1
	;; [unrolled: 2-line block ×4, first 2 shown]
	s_mov_b32 s6, 0xcf8ee29d
	v_mul_f32_e32 v2, 0, v4
	v_mul_f32_e32 v3, v4, v3
	s_mov_b32 s7, 0x53f5f59c
	v_pk_add_f32 v[2:3], v[2:3], s[6:7]
	s_mov_b32 s6, 0x53e3ba8e
	s_mov_b32 s7, 0x578d3514
	v_pk_fma_f32 v[2:3], v[4:5], v[2:3], s[6:7] op_sel_hi:[0,1,1]
	s_mov_b32 s6, 0xd762b0a7
	s_mov_b32 s7, 0x5ae20a0c
	v_pk_fma_f32 v[2:3], v[4:5], v[2:3], s[6:7] op_sel_hi:[0,1,1]
	;; [unrolled: 3-line block ×3, first 2 shown]
	s_mov_b32 s6, 0xc0b90fdc
	s_mov_b32 s7, 0xc1f3c525
	v_pk_add_f32 v[8:9], v[4:5], s[6:7] op_sel_hi:[0,1]
	v_mul_f32_e32 v1, v8, v9
	v_mul_f32_e32 v1, v1, v2
	v_div_scale_f32 v2, s[6:7], v3, v3, v1
	v_rcp_f32_e32 v4, v2
	v_fma_f32 v7, -v2, v4, 1.0
	v_fmac_f32_e32 v4, v7, v4
	v_div_scale_f32 v7, vcc, v1, v3, v1
	v_mul_f32_e32 v8, v7, v4
	v_fma_f32 v9, -v2, v8, v7
	v_fmac_f32_e32 v8, v9, v4
	v_fma_f32 v2, -v2, v8, v7
	v_div_fmas_f32 v2, v2, v4, v8
	v_div_fixup_f32 v2, v2, v3, v1
                                        ; implicit-def: $vgpr4
.LBB21_315:
	s_andn2_saveexec_b64 s[2:3], s[2:3]
; %bb.316:
	s_mov_b32 s6, 0xbe800000
	v_fma_f32 v2, v4, s6, 1.0
; %bb.317:
	s_or_b64 exec, exec, s[2:3]
                                        ; implicit-def: $vgpr1
.LBB21_318:
	s_andn2_saveexec_b64 s[10:11], s[0:1]
	s_cbranch_execz .LBB21_329
; %bb.319:
	v_add_f32_e32 v2, 0xbf490fdb, v1
	s_brev_b32 s0, 18
	v_and_b32_e32 v3, 0x7fffffff, v2
	v_cmp_nlt_f32_e64 s[12:13], |v2|, s0
                                        ; implicit-def: $vgpr4
                                        ; implicit-def: $vgpr7
	s_and_saveexec_b64 s[0:1], s[12:13]
	s_xor_b64 s[14:15], exec, s[0:1]
	s_cbranch_execz .LBB21_322
; %bb.320:
	v_lshrrev_b32_e32 v4, 23, v3
	v_add_u32_e32 v4, 0xffffff88, v4
	v_not_b32_e32 v7, 63
	v_cmp_lt_u32_e32 vcc, 63, v4
	v_cndmask_b32_e32 v7, 0, v7, vcc
	v_add_u32_e32 v4, v7, v4
	v_not_b32_e32 v7, 31
	v_cmp_lt_u32_e64 s[0:1], 31, v4
	v_cndmask_b32_e64 v8, 0, v7, s[0:1]
	v_add_u32_e32 v4, v8, v4
	v_cmp_lt_u32_e64 s[2:3], 31, v4
	v_cndmask_b32_e64 v7, 0, v7, s[2:3]
	v_add_u32_e32 v4, v7, v4
	v_and_b32_e32 v7, 0x7fffff, v3
	v_or_b32_e32 v7, 0x800000, v7
	s_mov_b32 s6, 0xfe5163ab
	v_mad_u64_u32 v[10:11], s[6:7], v7, s6, 0
	v_mov_b32_e32 v9, 0
	v_mov_b32_e32 v8, v11
	s_mov_b32 s6, 0x3c439041
	v_mad_u64_u32 v[14:15], s[6:7], v7, s6, v[8:9]
	v_mov_b32_e32 v8, v15
	s_mov_b32 s6, 0xdb629599
	v_mad_u64_u32 v[16:17], s[6:7], v7, s6, v[8:9]
	;; [unrolled: 3-line block ×6, first 2 shown]
	v_cndmask_b32_e32 v11, v22, v18, vcc
	v_cndmask_b32_e32 v7, v8, v20, vcc
	;; [unrolled: 1-line block ×3, first 2 shown]
	v_cndmask_b32_e64 v8, v7, v11, s[0:1]
	v_cndmask_b32_e64 v7, v9, v7, s[0:1]
	v_cndmask_b32_e32 v9, v20, v16, vcc
	v_cndmask_b32_e64 v11, v11, v9, s[0:1]
	v_cndmask_b32_e64 v7, v7, v8, s[2:3]
	;; [unrolled: 1-line block ×3, first 2 shown]
	v_sub_u32_e32 v12, 32, v4
	v_alignbit_b32 v15, v7, v8, v12
	v_cmp_eq_u32_e64 s[6:7], 0, v4
	v_cndmask_b32_e64 v4, v15, v7, s[6:7]
	v_cndmask_b32_e32 v7, v18, v14, vcc
	v_cndmask_b32_e64 v9, v9, v7, s[0:1]
	v_cndmask_b32_e64 v11, v11, v9, s[2:3]
	v_alignbit_b32 v14, v8, v11, v12
	v_cndmask_b32_e64 v8, v14, v8, s[6:7]
	v_bfe_u32 v17, v4, 29, 1
	v_cndmask_b32_e32 v10, v16, v10, vcc
	v_alignbit_b32 v14, v4, v8, 30
	v_sub_u32_e32 v18, 0, v17
	v_cndmask_b32_e64 v7, v7, v10, s[0:1]
	v_xor_b32_e32 v19, v14, v18
	v_cndmask_b32_e64 v7, v9, v7, s[2:3]
	v_alignbit_b32 v9, v11, v7, v12
	v_ffbh_u32_e32 v10, v19
	v_cndmask_b32_e64 v9, v9, v11, s[6:7]
	v_add_u32_e32 v10, 1, v10
	v_cmp_ne_u32_e32 vcc, v14, v18
	v_alignbit_b32 v8, v8, v9, 30
	v_cndmask_b32_e32 v10, 33, v10, vcc
	v_alignbit_b32 v7, v9, v7, 30
	v_xor_b32_e32 v8, v8, v18
	v_sub_u32_e32 v11, 32, v10
	v_xor_b32_e32 v7, v7, v18
	v_alignbit_b32 v12, v19, v8, v11
	v_alignbit_b32 v7, v8, v7, v11
	;; [unrolled: 1-line block ×3, first 2 shown]
	v_ffbh_u32_e32 v9, v8
	v_min_u32_e32 v9, 32, v9
	v_lshrrev_b32_e32 v15, 29, v4
	v_sub_u32_e32 v11, 31, v9
	v_alignbit_b32 v7, v8, v7, v11
	v_lshlrev_b32_e32 v8, 31, v15
	v_or_b32_e32 v11, 0x33800000, v8
	v_add_lshl_u32 v9, v9, v10, 23
	v_lshrrev_b32_e32 v7, 9, v7
	v_sub_u32_e32 v9, v11, v9
	v_or_b32_e32 v7, v9, v7
	v_alignbit_b32 v9, v10, v12, 9
	v_or_b32_e32 v8, v9, v8
	v_xor_b32_e32 v8, 1.0, v8
	s_mov_b32 s0, 0x3fc90fda
	v_mul_f32_e32 v9, 0x3fc90fda, v8
	v_fma_f32 v10, v8, s0, -v9
	v_fmac_f32_e32 v10, 0x33a22168, v8
	v_fmac_f32_e32 v10, 0x3fc90fda, v7
	v_lshrrev_b32_e32 v4, 30, v4
	v_add_f32_e32 v7, v9, v10
	v_add_u32_e32 v4, v17, v4
	s_andn2_saveexec_b64 s[0:1], s[14:15]
	s_branch .LBB21_323
.LBB21_321:
	s_mov_b64 s[2:3], -1
	s_mov_b64 s[0:1], 0
	s_mov_b64 s[8:9], s[56:57]
                                        ; implicit-def: $vgpr1
	s_branch .LBB21_489
.LBB21_322:
	s_andn2_saveexec_b64 s[0:1], s[14:15]
.LBB21_323:
	s_mov_b32 s2, 0x3f22f983
	v_mul_f32_e64 v4, |v2|, s2
	v_rndne_f32_e32 v8, v4
	s_mov_b32 s2, 0xbfc90fda
	v_cvt_i32_f32_e32 v4, v8
	v_fma_f32 v7, v8, s2, |v2|
	v_fmac_f32_e32 v7, 0xb3a22168, v8
	v_fmac_f32_e32 v7, 0xa7c234c4, v8
; %bb.324:
	s_or_b64 exec, exec, s[0:1]
                                        ; implicit-def: $vgpr8
                                        ; implicit-def: $vgpr9
	s_and_saveexec_b64 s[0:1], s[12:13]
	s_xor_b64 s[12:13], exec, s[0:1]
	s_cbranch_execz .LBB21_326
; %bb.325:
	v_lshrrev_b32_e32 v8, 23, v3
	v_add_u32_e32 v8, 0xffffff88, v8
	v_not_b32_e32 v10, 63
	v_cmp_lt_u32_e32 vcc, 63, v8
	v_cndmask_b32_e32 v10, 0, v10, vcc
	v_add_u32_e32 v8, v10, v8
	v_not_b32_e32 v10, 31
	v_cmp_lt_u32_e64 s[0:1], 31, v8
	v_cndmask_b32_e64 v11, 0, v10, s[0:1]
	v_add_u32_e32 v8, v11, v8
	v_cmp_lt_u32_e64 s[2:3], 31, v8
	v_cndmask_b32_e64 v10, 0, v10, s[2:3]
	v_add_u32_e32 v12, v10, v8
	v_and_b32_e32 v8, 0x7fffff, v3
	v_or_b32_e32 v24, 0x800000, v8
	s_mov_b32 s6, 0xfe5163ab
	v_mad_u64_u32 v[10:11], s[6:7], v24, s6, 0
	v_mov_b32_e32 v9, 0
	v_mov_b32_e32 v8, v11
	s_mov_b32 s6, 0x3c439041
	v_mad_u64_u32 v[14:15], s[6:7], v24, s6, v[8:9]
	v_mov_b32_e32 v8, v15
	s_mov_b32 s6, 0xdb629599
	v_mad_u64_u32 v[16:17], s[6:7], v24, s6, v[8:9]
	;; [unrolled: 3-line block ×6, first 2 shown]
	v_cndmask_b32_e32 v11, v22, v18, vcc
	v_cndmask_b32_e32 v8, v8, v20, vcc
	;; [unrolled: 1-line block ×3, first 2 shown]
	v_cndmask_b32_e64 v15, v8, v11, s[0:1]
	v_cndmask_b32_e64 v8, v9, v8, s[0:1]
	v_cndmask_b32_e32 v9, v20, v16, vcc
	v_cndmask_b32_e64 v11, v11, v9, s[0:1]
	v_sub_u32_e32 v17, 32, v12
	v_cmp_eq_u32_e64 s[6:7], 0, v12
	v_cndmask_b32_e32 v12, v18, v14, vcc
	v_cndmask_b32_e64 v8, v8, v15, s[2:3]
	v_cndmask_b32_e64 v15, v15, v11, s[2:3]
	;; [unrolled: 1-line block ×3, first 2 shown]
	v_alignbit_b32 v19, v8, v15, v17
	v_cndmask_b32_e64 v11, v11, v9, s[2:3]
	v_cndmask_b32_e64 v8, v19, v8, s[6:7]
	v_alignbit_b32 v14, v15, v11, v17
	v_cndmask_b32_e64 v14, v14, v15, s[6:7]
	v_bfe_u32 v19, v8, 29, 1
	v_cndmask_b32_e32 v10, v16, v10, vcc
	v_alignbit_b32 v15, v8, v14, 30
	v_sub_u32_e32 v20, 0, v19
	v_cndmask_b32_e64 v10, v12, v10, s[0:1]
	v_xor_b32_e32 v21, v15, v20
	v_cndmask_b32_e64 v9, v9, v10, s[2:3]
	v_alignbit_b32 v10, v11, v9, v17
	v_ffbh_u32_e32 v12, v21
	v_cndmask_b32_e64 v10, v10, v11, s[6:7]
	v_add_u32_e32 v12, 1, v12
	v_cmp_ne_u32_e32 vcc, v15, v20
	v_alignbit_b32 v11, v14, v10, 30
	v_cndmask_b32_e32 v12, 33, v12, vcc
	v_alignbit_b32 v9, v10, v9, 30
	v_xor_b32_e32 v11, v11, v20
	v_sub_u32_e32 v14, 32, v12
	v_xor_b32_e32 v9, v9, v20
	v_alignbit_b32 v15, v21, v11, v14
	v_alignbit_b32 v9, v11, v9, v14
	;; [unrolled: 1-line block ×3, first 2 shown]
	v_ffbh_u32_e32 v11, v10
	v_min_u32_e32 v11, 32, v11
	v_lshrrev_b32_e32 v18, 29, v8
	v_sub_u32_e32 v14, 31, v11
	v_alignbit_b32 v9, v10, v9, v14
	v_lshlrev_b32_e32 v10, 31, v18
	v_or_b32_e32 v14, 0x33800000, v10
	v_add_lshl_u32 v11, v11, v12, 23
	v_lshrrev_b32_e32 v9, 9, v9
	v_sub_u32_e32 v11, v14, v11
	v_or_b32_e32 v9, v11, v9
	v_alignbit_b32 v11, v12, v15, 9
	v_or_b32_e32 v10, v11, v10
	v_xor_b32_e32 v10, 1.0, v10
	s_mov_b32 s0, 0x3fc90fda
	v_mul_f32_e32 v11, 0x3fc90fda, v10
	v_fma_f32 v12, v10, s0, -v11
	v_fmac_f32_e32 v12, 0x33a22168, v10
	v_fmac_f32_e32 v12, 0x3fc90fda, v9
	v_lshrrev_b32_e32 v8, 30, v8
	v_add_f32_e32 v9, v11, v12
	v_add_u32_e32 v8, v19, v8
	s_andn2_saveexec_b64 s[0:1], s[12:13]
	s_cbranch_execnz .LBB21_327
	s_branch .LBB21_328
.LBB21_326:
	s_andn2_saveexec_b64 s[0:1], s[12:13]
.LBB21_327:
	s_mov_b32 s2, 0x3f22f983
	v_mul_f32_e64 v8, |v2|, s2
	v_rndne_f32_e32 v10, v8
	s_mov_b32 s2, 0xbfc90fda
	v_cvt_i32_f32_e32 v8, v10
	v_fma_f32 v9, v10, s2, |v2|
	v_fmac_f32_e32 v9, 0xb3a22168, v10
	v_fmac_f32_e32 v9, 0xa7c234c4, v10
.LBB21_328:
	s_or_b64 exec, exec, s[0:1]
	v_mul_f32_e32 v10, v1, v1
	s_mov_b32 s2, 0x41c80000
	v_div_scale_f32 v11, s[0:1], v10, v10, s2
	v_rcp_f32_e32 v12, v11
	v_mov_b32_e32 v20, 0xbf000004
	s_mov_b32 s6, 0xc0a00000
	v_fma_f32 v14, -v11, v12, 1.0
	v_fmac_f32_e32 v12, v14, v12
	v_div_scale_f32 v14, vcc, s2, v10, s2
	v_mul_f32_e32 v15, v14, v12
	v_fma_f32 v16, -v11, v15, v14
	v_fmac_f32_e32 v15, v16, v12
	v_fma_f32 v11, -v11, v15, v14
	v_div_fmas_f32 v11, v11, v12, v15
	v_div_fixup_f32 v10, v11, v10, s2
	v_mov_b32_e32 v11, 0x3a50e985
	v_fmac_f32_e32 v11, 0, v10
	v_mov_b32_e32 v12, 0x3da9a586
	v_fmac_f32_e32 v12, v10, v11
	;; [unrolled: 2-line block ×12, first 2 shown]
	v_fma_f32 v11, v10, v14, 1.0
	v_mov_b32_e32 v14, 0xbc3a3a12
	v_fmac_f32_e32 v14, 0, v10
	v_mov_b32_e32 v15, 0xbfa429da
	v_fmac_f32_e32 v15, v10, v14
	;; [unrolled: 2-line block ×9, first 2 shown]
	v_mov_b32_e32 v16, 0x44561b86
	v_fma_f32 v12, v10, v12, 1.0
	v_fmac_f32_e32 v16, v10, v14
	v_mov_b32_e32 v14, 0x4572a66e
	v_div_scale_f32 v17, s[0:1], v11, v11, v12
	v_fmac_f32_e32 v14, v10, v16
	v_mov_b32_e32 v16, 0x45e243be
	v_rcp_f32_e32 v18, v17
	v_fmac_f32_e32 v16, v10, v14
	v_mov_b32_e32 v14, 0x45b955d1
	v_fmac_f32_e32 v14, v10, v16
	v_mov_b32_e32 v16, 0x4500e17e
	;; [unrolled: 2-line block ×3, first 2 shown]
	v_fmac_f32_e32 v14, v10, v16
	v_fma_f32 v10, -v17, v18, 1.0
	v_fmac_f32_e32 v18, v10, v18
	v_div_scale_f32 v10, vcc, v12, v11, v12
	v_mul_f32_e32 v16, v10, v18
	v_fma_f32 v19, -v17, v16, v10
	v_fmac_f32_e32 v16, v19, v18
	v_fma_f32 v10, -v17, v16, v10
	v_div_fmas_f32 v10, v10, v18, v16
	v_div_fixup_f32 v10, v10, v11, v12
	v_mul_f32_e32 v11, v7, v7
	v_mov_b32_e32 v18, 0xbab64f3b
	v_mov_b32_e32 v16, 0x3c0881c4
	v_fmac_f32_e32 v18, 0x37d75334, v11
	v_mov_b32_e32 v19, 0x3d2aabf7
	v_fmac_f32_e32 v16, 0xb94c1982, v11
	v_mov_b32_e32 v17, 0xbe2aaa9d
	v_fma_f32 v18, v11, v18, v19
	v_fma_f32 v16, v11, v16, v17
	;; [unrolled: 1-line block ×3, first 2 shown]
	v_mul_f32_e32 v16, v11, v16
	v_fma_f32 v11, v11, v18, 1.0
	v_and_b32_e32 v18, 1, v4
	v_fmac_f32_e32 v7, v7, v16
	v_cmp_eq_u32_e32 vcc, 0, v18
	v_lshlrev_b32_e32 v4, 30, v4
	v_cndmask_b32_e64 v7, -v7, v11, vcc
	v_and_b32_e32 v4, 0x80000000, v4
	v_xor_b32_e32 v4, v4, v7
	v_div_scale_f32 v7, s[0:1], v1, v1, s6
	v_rcp_f32_e32 v11, v7
	s_movk_i32 s2, 0x1f8
	v_cmp_class_f32_e64 s[0:1], v2, s2
	v_mov_b32_e32 v12, 0x3c0881c4
	v_fma_f32 v21, -v7, v11, 1.0
	v_fmac_f32_e32 v11, v21, v11
	v_div_scale_f32 v21, vcc, s6, v1, s6
	v_mul_f32_e32 v22, v21, v11
	v_fma_f32 v23, -v7, v22, v21
	v_fmac_f32_e32 v22, v23, v11
	v_fma_f32 v7, -v7, v22, v21
	v_div_scale_f32 v21, s[2:3], v14, v14, v15
	v_rcp_f32_e32 v23, v21
	v_div_fmas_f32 v7, v7, v11, v22
	v_div_fixup_f32 v7, v7, v1, s6
	v_mov_b32_e32 v16, 0xbab64f3b
	v_fma_f32 v11, -v21, v23, 1.0
	v_fmac_f32_e32 v23, v11, v23
	v_div_scale_f32 v11, vcc, v15, v14, v15
	v_mul_f32_e32 v22, v11, v23
	v_fma_f32 v24, -v21, v22, v11
	v_fmac_f32_e32 v22, v24, v23
	v_fma_f32 v11, -v21, v22, v11
	v_div_fmas_f32 v11, v11, v23, v22
	v_div_fixup_f32 v11, v11, v14, v15
	v_mul_f32_e32 v7, v7, v11
	v_mul_f32_e32 v11, v9, v9
	v_fmac_f32_e32 v12, 0xb94c1982, v11
	v_fmac_f32_e32 v17, v11, v12
	;; [unrolled: 1-line block ×3, first 2 shown]
	v_mul_f32_e32 v12, v11, v17
	v_fmac_f32_e32 v19, v11, v16
	v_fmac_f32_e32 v9, v9, v12
	;; [unrolled: 1-line block ×3, first 2 shown]
	v_and_b32_e32 v12, 1, v8
	v_lshlrev_b32_e32 v8, 30, v8
	v_fma_f32 v11, v11, v20, 1.0
	v_cmp_eq_u32_e32 vcc, 0, v12
	v_and_b32_e32 v8, 0x80000000, v8
	v_xor_b32_e32 v2, v3, v2
	v_cndmask_b32_e32 v9, v11, v9, vcc
	v_xor_b32_e32 v2, v2, v8
	v_mov_b32_e32 v18, 0x7fc00000
	v_xor_b32_e32 v2, v2, v9
	v_cndmask_b32_e64 v4, v18, v4, s[0:1]
	v_cndmask_b32_e64 v2, v18, v2, s[0:1]
	s_mov_b32 s0, 0xf800000
	v_mul_f32_e32 v3, 0x4f800000, v1
	v_cmp_gt_f32_e32 vcc, s0, v1
	v_cndmask_b32_e32 v1, v1, v3, vcc
	v_sqrt_f32_e32 v3, v1
	v_mul_f32_e32 v2, v7, v2
	v_fmac_f32_e32 v2, v10, v4
	v_mul_f32_e32 v2, 0x3f4c422a, v2
	v_add_u32_e32 v4, -1, v3
	v_fma_f32 v7, -v4, v3, v1
	v_cmp_ge_f32_e64 s[0:1], 0, v7
	v_add_u32_e32 v7, 1, v3
	v_cndmask_b32_e64 v4, v3, v4, s[0:1]
	v_fma_f32 v3, -v7, v3, v1
	v_cmp_lt_f32_e64 s[0:1], 0, v3
	v_cndmask_b32_e64 v3, v4, v7, s[0:1]
	v_mul_f32_e32 v4, 0x37800000, v3
	v_cndmask_b32_e32 v3, v3, v4, vcc
	v_mov_b32_e32 v4, 0x260
	v_cmp_class_f32_e32 vcc, v1, v4
	v_cndmask_b32_e32 v1, v3, v1, vcc
	v_div_scale_f32 v3, s[0:1], v1, v1, v2
	v_rcp_f32_e32 v4, v3
	v_fma_f32 v7, -v3, v4, 1.0
	v_fmac_f32_e32 v4, v7, v4
	v_div_scale_f32 v7, vcc, v2, v1, v2
	v_mul_f32_e32 v8, v7, v4
	v_fma_f32 v9, -v3, v8, v7
	v_fmac_f32_e32 v8, v9, v4
	v_fma_f32 v3, -v3, v8, v7
	v_div_fmas_f32 v3, v3, v4, v8
	v_div_fixup_f32 v2, v3, v1, v2
.LBB21_329:
	s_or_b64 exec, exec, s[10:11]
	v_mov_b32_e32 v1, s25
	v_add_co_u32_e32 v0, vcc, s24, v0
	v_mov_b32_e32 v3, 11
	v_addc_co_u32_e32 v1, vcc, 0, v1, vcc
	v_cmp_lt_i16_sdwa s[0:1], v6, v3 src0_sel:BYTE_0 src1_sel:DWORD
	s_and_b64 vcc, exec, s[0:1]
	s_cbranch_vccnz .LBB21_336
; %bb.330:
	v_mov_b32_e32 v3, 25
	v_cmp_gt_i16_sdwa s[0:1], v6, v3 src0_sel:BYTE_0 src1_sel:DWORD
	s_and_b64 vcc, exec, s[0:1]
	s_cbranch_vccz .LBB21_338
; %bb.331:
	v_mov_b32_e32 v3, 28
	v_cmp_gt_i16_sdwa s[0:1], v6, v3 src0_sel:BYTE_0 src1_sel:DWORD
	s_and_b64 vcc, exec, s[0:1]
	s_cbranch_vccz .LBB21_340
	;; [unrolled: 5-line block ×4, first 2 shown]
; %bb.334:
	v_mov_b32_e32 v3, 46
	v_cmp_eq_u16_sdwa s[2:3], v6, v3 src0_sel:BYTE_0 src1_sel:DWORD
	s_mov_b64 s[6:7], 0
	s_mov_b64 s[0:1], -1
	s_and_b64 vcc, exec, s[2:3]
	s_mov_b64 s[2:3], 0
	s_cbranch_vccz .LBB21_352
; %bb.335:
	v_bfe_u32 v3, v2, 16, 1
	s_movk_i32 s0, 0x7fff
	v_add3_u32 v3, v2, v3, s0
	v_lshrrev_b32_e32 v3, 16, v3
	v_mov_b32_e32 v4, 0x7fc0
	v_cmp_o_f32_e32 vcc, v2, v2
	v_cndmask_b32_e32 v3, v4, v3, vcc
	global_store_dword v[0:1], v3, off
	s_mov_b64 s[2:3], -1
	s_mov_b64 s[0:1], 0
	s_branch .LBB21_352
.LBB21_336:
	s_mov_b64 s[6:7], -1
	s_mov_b64 s[2:3], 0
	s_mov_b64 s[0:1], s[54:55]
	s_branch .LBB21_421
.LBB21_337:
	s_mov_b64 s[2:3], -1
	s_mov_b64 s[0:1], 0
	s_mov_b64 s[8:9], s[56:57]
                                        ; implicit-def: $vgpr1
	s_branch .LBB21_470
.LBB21_338:
	s_mov_b64 s[6:7], -1
	s_mov_b64 s[2:3], 0
	s_mov_b64 s[0:1], s[54:55]
	s_branch .LBB21_379
.LBB21_339:
	s_mov_b64 s[2:3], -1
	s_mov_b64 s[0:1], 0
	s_mov_b64 s[8:9], s[56:57]
                                        ; implicit-def: $vgpr1
	s_branch .LBB21_465
.LBB21_340:
	s_mov_b64 s[6:7], -1
	s_mov_b64 s[2:3], 0
	s_mov_b64 s[0:1], s[54:55]
	s_branch .LBB21_362
.LBB21_341:
	s_or_saveexec_b64 s[10:11], s[10:11]
                                        ; implicit-def: $sgpr12
	s_xor_b64 exec, exec, s[10:11]
	s_cbranch_execz .LBB21_85
.LBB21_342:
	s_mov_b32 s12, 0x46000000
	v_add_f32_e64 v3, |v2|, s12
	v_and_b32_e32 v3, 0xff, v3
	v_cmp_ne_u32_e32 vcc, 0, v3
	s_andn2_b64 s[6:7], s[6:7], exec
	s_and_b64 s[14:15], vcc, exec
	s_mov_b32 s12, 0
	s_or_b64 s[6:7], s[6:7], s[14:15]
	s_or_b64 exec, exec, s[10:11]
	v_mov_b32_e32 v4, s12
	s_and_saveexec_b64 s[10:11], s[6:7]
	s_cbranch_execnz .LBB21_86
	s_branch .LBB21_87
.LBB21_343:
	s_mov_b64 s[2:3], -1
	s_mov_b64 s[0:1], 0
	s_mov_b64 s[8:9], s[56:57]
                                        ; implicit-def: $vgpr1
	s_branch .LBB21_348
.LBB21_344:
	s_mov_b64 s[6:7], -1
	s_mov_b64 s[2:3], 0
	s_mov_b64 s[0:1], s[54:55]
	s_branch .LBB21_358
.LBB21_345:
	s_or_saveexec_b64 s[10:11], s[10:11]
                                        ; implicit-def: $sgpr12
	s_xor_b64 exec, exec, s[10:11]
	s_cbranch_execz .LBB21_98
.LBB21_346:
	s_mov_b32 s12, 0x42800000
	v_add_f32_e64 v3, |v2|, s12
	v_and_b32_e32 v3, 0xff, v3
	v_cmp_ne_u32_e32 vcc, 0, v3
	s_andn2_b64 s[6:7], s[6:7], exec
	s_and_b64 s[14:15], vcc, exec
	s_mov_b32 s12, 0
	s_or_b64 s[6:7], s[6:7], s[14:15]
	s_or_b64 exec, exec, s[10:11]
	v_mov_b32_e32 v4, s12
	s_and_saveexec_b64 s[10:11], s[6:7]
	s_cbranch_execnz .LBB21_99
	s_branch .LBB21_100
.LBB21_347:
	s_mov_b64 s[8:9], -1
                                        ; implicit-def: $vgpr1
	s_mov_b64 s[0:1], 0
.LBB21_348:
	s_and_b64 vcc, exec, s[2:3]
	s_cbranch_vccz .LBB21_464
; %bb.349:
	v_cmp_eq_u16_e32 vcc, 44, v5
	s_cbranch_vccz .LBB21_463
; %bb.350:
	global_load_ubyte v1, v[2:3], off
	s_movk_i32 s2, 0xff
	v_mov_b32_e32 v4, 0x7f800001
	v_mov_b32_e32 v7, 0x400000
	s_mov_b64 s[0:1], -1
	s_mov_b64 s[8:9], 0
	s_waitcnt vmcnt(0)
	v_lshlrev_b32_e32 v8, 23, v1
	v_cmp_ne_u32_e32 vcc, s2, v1
	v_cndmask_b32_e32 v4, v4, v8, vcc
	v_cmp_ne_u32_e32 vcc, 0, v1
	v_cndmask_b32_e32 v1, v7, v4, vcc
	s_branch .LBB21_464
.LBB21_351:
	s_mov_b64 s[6:7], -1
	s_mov_b64 s[2:3], 0
	s_mov_b64 s[0:1], s[54:55]
.LBB21_352:
	s_and_b64 vcc, exec, s[6:7]
	s_cbranch_vccz .LBB21_357
; %bb.353:
	v_mov_b32_e32 v3, 44
	v_cmp_eq_u16_sdwa s[6:7], v6, v3 src0_sel:BYTE_0 src1_sel:DWORD
	s_mov_b64 s[0:1], -1
	s_and_b64 vcc, exec, s[6:7]
	s_cbranch_vccz .LBB21_357
; %bb.354:
	v_bfe_u32 v3, v2, 23, 8
	s_movk_i32 s0, 0xff
	v_cmp_ne_u32_e32 vcc, s0, v3
	v_mov_b32_e32 v4, 0xff
	s_and_saveexec_b64 s[2:3], vcc
; %bb.355:
	s_mov_b32 s0, 0x3fffff
	v_and_b32_e32 v7, 0x400000, v2
	v_and_or_b32 v3, v2, s0, v3
	v_cmp_ne_u32_e32 vcc, 0, v7
	v_cmp_ne_u32_e64 s[0:1], 0, v3
	s_and_b64 s[0:1], vcc, s[0:1]
	v_lshrrev_b32_e32 v4, 23, v2
	v_cndmask_b32_e64 v3, 0, 1, s[0:1]
	v_add_u32_e32 v4, v4, v3
; %bb.356:
	s_or_b64 exec, exec, s[2:3]
	s_mov_b64 s[2:3], -1
	s_mov_b64 s[0:1], 0
	global_store_byte v[0:1], v4, off
.LBB21_357:
	s_mov_b64 s[6:7], 0
.LBB21_358:
	s_and_b64 vcc, exec, s[6:7]
	s_cbranch_vccz .LBB21_361
; %bb.359:
	v_mov_b32_e32 v3, 29
	v_cmp_eq_u16_sdwa s[6:7], v6, v3 src0_sel:BYTE_0 src1_sel:DWORD
	s_mov_b64 s[0:1], -1
	s_and_b64 vcc, exec, s[6:7]
	s_cbranch_vccz .LBB21_361
; %bb.360:
	v_trunc_f32_e32 v3, v2
	v_mul_f32_e32 v4, 0x2f800000, v3
	v_floor_f32_e32 v4, v4
	v_fmac_f32_e32 v3, 0xcf800000, v4
	v_cvt_u32_f32_e32 v9, v4
	v_cvt_u32_f32_e32 v8, v3
	s_mov_b64 s[2:3], -1
	s_mov_b64 s[0:1], 0
	s_mov_b64 s[6:7], 0
	global_store_dwordx2 v[0:1], v[8:9], off
	s_branch .LBB21_362
.LBB21_361:
	s_mov_b64 s[6:7], 0
.LBB21_362:
	s_and_b64 vcc, exec, s[6:7]
	s_cbranch_vccz .LBB21_378
; %bb.363:
	v_mov_b32_e32 v3, 27
	v_cmp_lt_i16_sdwa s[6:7], v6, v3 src0_sel:BYTE_0 src1_sel:DWORD
	s_mov_b64 s[2:3], -1
	s_and_b64 vcc, exec, s[6:7]
	s_cbranch_vccnz .LBB21_369
; %bb.364:
	v_cmp_gt_i16_sdwa s[6:7], v6, v3 src0_sel:BYTE_0 src1_sel:DWORD
	v_cvt_u32_f32_e32 v3, v2
	s_and_b64 vcc, exec, s[6:7]
	s_cbranch_vccz .LBB21_366
; %bb.365:
	s_mov_b64 s[2:3], 0
	global_store_dword v[0:1], v3, off
.LBB21_366:
	s_andn2_b64 vcc, exec, s[2:3]
	s_cbranch_vccnz .LBB21_368
; %bb.367:
	global_store_short v[0:1], v3, off
.LBB21_368:
	s_mov_b64 s[2:3], 0
.LBB21_369:
	s_andn2_b64 vcc, exec, s[2:3]
	s_cbranch_vccnz .LBB21_377
; %bb.370:
	v_and_b32_e32 v3, 0x7fffffff, v2
	s_mov_b32 s2, 0x43800000
	v_cmp_gt_u32_e32 vcc, s2, v3
	v_mov_b32_e32 v4, 0x80
	s_and_saveexec_b64 s[2:3], vcc
	s_cbranch_execz .LBB21_376
; %bb.371:
	s_mov_b32 s6, 0x3bffffff
	v_cmp_lt_u32_e32 vcc, s6, v3
	s_mov_b64 s[6:7], 0
                                        ; implicit-def: $vgpr3
	s_and_saveexec_b64 s[10:11], vcc
	s_xor_b64 s[10:11], exec, s[10:11]
	s_cbranch_execz .LBB21_605
; %bb.372:
	v_bfe_u32 v3, v2, 20, 1
	s_mov_b32 s12, 0x487ffff
	v_add3_u32 v3, v2, v3, s12
	s_mov_b64 s[6:7], exec
	v_lshrrev_b32_e32 v3, 20, v3
	s_or_saveexec_b64 s[10:11], s[10:11]
                                        ; implicit-def: $sgpr12
	s_xor_b64 exec, exec, s[10:11]
	s_cbranch_execnz .LBB21_606
.LBB21_373:
	s_or_b64 exec, exec, s[10:11]
	v_mov_b32_e32 v4, s12
	s_and_saveexec_b64 s[10:11], s[6:7]
.LBB21_374:
	v_lshrrev_b32_e32 v4, 24, v2
	s_movk_i32 s6, 0x80
	v_and_or_b32 v4, v4, s6, v3
.LBB21_375:
	s_or_b64 exec, exec, s[10:11]
.LBB21_376:
	s_or_b64 exec, exec, s[2:3]
	global_store_byte v[0:1], v4, off
.LBB21_377:
	s_mov_b64 s[2:3], -1
.LBB21_378:
	s_mov_b64 s[6:7], 0
.LBB21_379:
	s_and_b64 vcc, exec, s[6:7]
	s_cbranch_vccz .LBB21_420
; %bb.380:
	v_mov_b32_e32 v3, 22
	v_cmp_gt_i16_sdwa s[10:11], v6, v3 src0_sel:BYTE_0 src1_sel:DWORD
	s_mov_b64 s[6:7], -1
	s_and_b64 vcc, exec, s[10:11]
	s_cbranch_vccz .LBB21_412
; %bb.381:
	v_mov_b32_e32 v3, 24
	v_cmp_lt_i16_sdwa s[6:7], v6, v3 src0_sel:BYTE_0 src1_sel:DWORD
	s_mov_b64 s[2:3], -1
	s_and_b64 vcc, exec, s[6:7]
	s_cbranch_vccnz .LBB21_401
; %bb.382:
	v_cmp_gt_i16_sdwa s[6:7], v6, v3 src0_sel:BYTE_0 src1_sel:DWORD
	s_and_b64 vcc, exec, s[6:7]
	s_cbranch_vccz .LBB21_390
; %bb.383:
	v_and_b32_e32 v3, 0x7fffffff, v2
	s_mov_b32 s2, 0x47800000
	v_cmp_gt_u32_e32 vcc, s2, v3
	v_mov_b32_e32 v4, 0x80
	s_and_saveexec_b64 s[2:3], vcc
	s_cbranch_execz .LBB21_389
; %bb.384:
	s_mov_b32 s6, 0x37ffffff
	v_cmp_lt_u32_e32 vcc, s6, v3
	s_mov_b64 s[6:7], 0
                                        ; implicit-def: $vgpr3
	s_and_saveexec_b64 s[10:11], vcc
	s_xor_b64 s[10:11], exec, s[10:11]
	s_cbranch_execz .LBB21_608
; %bb.385:
	v_bfe_u32 v3, v2, 21, 1
	s_mov_b32 s12, 0x88fffff
	v_add3_u32 v3, v2, v3, s12
	s_mov_b64 s[6:7], exec
	v_lshrrev_b32_e32 v3, 21, v3
	s_or_saveexec_b64 s[10:11], s[10:11]
                                        ; implicit-def: $sgpr12
	s_xor_b64 exec, exec, s[10:11]
	s_cbranch_execnz .LBB21_609
.LBB21_386:
	s_or_b64 exec, exec, s[10:11]
	v_mov_b32_e32 v4, s12
	s_and_saveexec_b64 s[10:11], s[6:7]
.LBB21_387:
	v_lshrrev_b32_e32 v4, 24, v2
	s_movk_i32 s6, 0x80
	v_and_or_b32 v4, v4, s6, v3
.LBB21_388:
	s_or_b64 exec, exec, s[10:11]
.LBB21_389:
	s_or_b64 exec, exec, s[2:3]
	s_mov_b64 s[2:3], 0
	global_store_byte v[0:1], v4, off
.LBB21_390:
	s_and_b64 vcc, exec, s[2:3]
	s_cbranch_vccz .LBB21_400
; %bb.391:
	v_and_b32_e32 v4, 0x7fffffff, v2
	s_mov_b32 s2, 0x43f00000
	v_cmp_gt_u32_e32 vcc, s2, v4
                                        ; implicit-def: $vgpr3
	s_and_saveexec_b64 s[2:3], vcc
	s_xor_b64 s[2:3], exec, s[2:3]
	s_cbranch_execz .LBB21_397
; %bb.392:
	s_mov_b32 s6, 0x3c7fffff
	v_cmp_lt_u32_e32 vcc, s6, v4
                                        ; implicit-def: $vgpr3
	s_and_saveexec_b64 s[6:7], vcc
	s_xor_b64 s[6:7], exec, s[6:7]
; %bb.393:
	v_bfe_u32 v3, v2, 20, 1
	s_mov_b32 s10, 0x407ffff
	v_add3_u32 v3, v2, v3, s10
	v_lshrrev_b32_e32 v4, 20, v3
	v_and_b32_e32 v3, 0xff00000, v3
	s_mov_b32 s10, 0x7f00000
	v_mov_b32_e32 v7, 0x7e
	v_cmp_ne_u32_e32 vcc, s10, v3
	v_cndmask_b32_e32 v3, v7, v4, vcc
; %bb.394:
	s_andn2_saveexec_b64 s[6:7], s[6:7]
; %bb.395:
	s_mov_b32 s10, 0x46800000
	v_add_f32_e64 v3, |v2|, s10
; %bb.396:
	s_or_b64 exec, exec, s[6:7]
                                        ; implicit-def: $vgpr4
.LBB21_397:
	s_andn2_saveexec_b64 s[2:3], s[2:3]
; %bb.398:
	s_mov_b32 s6, 0x7f800000
	v_mov_b32_e32 v3, 0x7e
	v_mov_b32_e32 v7, 0x7f
	v_cmp_lt_u32_e32 vcc, s6, v4
	v_cndmask_b32_e32 v3, v3, v7, vcc
; %bb.399:
	s_or_b64 exec, exec, s[2:3]
	v_lshrrev_b32_e32 v4, 24, v2
	s_movk_i32 s2, 0x80
	v_and_or_b32 v3, v4, s2, v3
	global_store_byte v[0:1], v3, off
.LBB21_400:
	s_mov_b64 s[2:3], 0
.LBB21_401:
	s_andn2_b64 vcc, exec, s[2:3]
	s_cbranch_vccnz .LBB21_411
; %bb.402:
	v_and_b32_e32 v4, 0x7fffffff, v2
	s_mov_b32 s2, 0x47800000
	v_cmp_gt_u32_e32 vcc, s2, v4
                                        ; implicit-def: $vgpr3
	s_and_saveexec_b64 s[2:3], vcc
	s_xor_b64 s[2:3], exec, s[2:3]
	s_cbranch_execz .LBB21_408
; %bb.403:
	s_mov_b32 s6, 0x387fffff
	v_cmp_lt_u32_e32 vcc, s6, v4
                                        ; implicit-def: $vgpr3
	s_and_saveexec_b64 s[6:7], vcc
	s_xor_b64 s[6:7], exec, s[6:7]
; %bb.404:
	v_bfe_u32 v3, v2, 21, 1
	s_mov_b32 s10, 0x80fffff
	v_add3_u32 v3, v2, v3, s10
	v_lshrrev_b32_e32 v3, 21, v3
; %bb.405:
	s_andn2_saveexec_b64 s[6:7], s[6:7]
; %bb.406:
	s_mov_b32 s10, 0x43000000
	v_add_f32_e64 v3, |v2|, s10
; %bb.407:
	s_or_b64 exec, exec, s[6:7]
                                        ; implicit-def: $vgpr4
.LBB21_408:
	s_andn2_saveexec_b64 s[2:3], s[2:3]
; %bb.409:
	s_mov_b32 s6, 0x7f800000
	v_mov_b32_e32 v3, 0x7c
	v_mov_b32_e32 v7, 0x7f
	v_cmp_lt_u32_e32 vcc, s6, v4
	v_cndmask_b32_e32 v3, v3, v7, vcc
; %bb.410:
	s_or_b64 exec, exec, s[2:3]
	v_lshrrev_b32_e32 v4, 24, v2
	s_movk_i32 s2, 0x80
	v_and_or_b32 v3, v4, s2, v3
	global_store_byte v[0:1], v3, off
.LBB21_411:
	s_mov_b64 s[6:7], 0
	s_mov_b64 s[2:3], -1
.LBB21_412:
	s_andn2_b64 vcc, exec, s[6:7]
	s_cbranch_vccnz .LBB21_420
; %bb.413:
	v_mov_b32_e32 v3, 14
	v_cmp_gt_i16_sdwa s[10:11], v6, v3 src0_sel:BYTE_0 src1_sel:DWORD
	s_mov_b64 s[6:7], -1
	s_and_b64 vcc, exec, s[10:11]
	s_cbranch_vccz .LBB21_417
; %bb.414:
	v_mov_b32_e32 v3, 15
	v_cmp_eq_u16_sdwa s[6:7], v6, v3 src0_sel:BYTE_0 src1_sel:DWORD
	s_mov_b64 s[0:1], -1
	s_and_b64 vcc, exec, s[6:7]
	s_cbranch_vccz .LBB21_416
; %bb.415:
	v_bfe_u32 v3, v2, 16, 1
	s_movk_i32 s0, 0x7fff
	v_add3_u32 v3, v2, v3, s0
	v_lshrrev_b32_e32 v3, 16, v3
	v_mov_b32_e32 v4, 0x7fc0
	v_cmp_o_f32_e32 vcc, v2, v2
	v_cndmask_b32_e32 v3, v4, v3, vcc
	global_store_short v[0:1], v3, off
	s_mov_b64 s[2:3], -1
	s_mov_b64 s[0:1], 0
.LBB21_416:
	s_mov_b64 s[6:7], 0
.LBB21_417:
	s_and_b64 vcc, exec, s[6:7]
	s_cbranch_vccz .LBB21_420
; %bb.418:
	v_mov_b32_e32 v3, 11
	v_cmp_eq_u16_sdwa s[6:7], v6, v3 src0_sel:BYTE_0 src1_sel:DWORD
	s_mov_b64 s[0:1], -1
	s_and_b64 vcc, exec, s[6:7]
	s_cbranch_vccz .LBB21_420
; %bb.419:
	v_cmp_neq_f32_e32 vcc, 0, v2
	v_cndmask_b32_e64 v3, 0, 1, vcc
	s_mov_b64 s[2:3], -1
	s_mov_b64 s[0:1], 0
	global_store_byte v[0:1], v3, off
.LBB21_420:
	s_mov_b64 s[6:7], 0
.LBB21_421:
	s_and_b64 vcc, exec, s[6:7]
	s_cbranch_vccz .LBB21_460
; %bb.422:
	v_mov_b32_e32 v3, 5
	v_cmp_lt_i16_sdwa s[6:7], v6, v3 src0_sel:BYTE_0 src1_sel:DWORD
	s_mov_b64 s[2:3], -1
	s_and_b64 vcc, exec, s[6:7]
	s_cbranch_vccnz .LBB21_443
; %bb.423:
	v_mov_b32_e32 v3, 8
	v_cmp_lt_i16_sdwa s[6:7], v6, v3 src0_sel:BYTE_0 src1_sel:DWORD
	s_and_b64 vcc, exec, s[6:7]
	s_cbranch_vccnz .LBB21_433
; %bb.424:
	v_mov_b32_e32 v3, 9
	v_cmp_lt_i16_sdwa s[6:7], v6, v3 src0_sel:BYTE_0 src1_sel:DWORD
	s_and_b64 vcc, exec, s[6:7]
	s_cbranch_vccnz .LBB21_430
; %bb.425:
	v_cmp_gt_i16_sdwa s[6:7], v6, v3 src0_sel:BYTE_0 src1_sel:DWORD
	s_and_b64 vcc, exec, s[6:7]
	s_cbranch_vccz .LBB21_427
; %bb.426:
	v_mov_b32_e32 v10, 0
	v_cvt_f64_f32_e32 v[8:9], v2
	v_mov_b32_e32 v11, v10
	s_mov_b64 s[2:3], 0
	global_store_dwordx4 v[0:1], v[8:11], off
.LBB21_427:
	s_andn2_b64 vcc, exec, s[2:3]
	s_cbranch_vccnz .LBB21_429
; %bb.428:
	v_mov_b32_e32 v3, 0
	global_store_dwordx2 v[0:1], v[2:3], off
.LBB21_429:
	s_mov_b64 s[2:3], 0
.LBB21_430:
	s_andn2_b64 vcc, exec, s[2:3]
	s_cbranch_vccnz .LBB21_432
; %bb.431:
	v_cvt_f16_f32_e32 v3, v2
	global_store_dword v[0:1], v3, off
.LBB21_432:
	s_mov_b64 s[2:3], 0
.LBB21_433:
	s_andn2_b64 vcc, exec, s[2:3]
	s_cbranch_vccnz .LBB21_442
; %bb.434:
	v_mov_b32_e32 v3, 6
	v_cmp_lt_i16_sdwa s[6:7], v6, v3 src0_sel:BYTE_0 src1_sel:DWORD
	s_mov_b64 s[2:3], -1
	s_and_b64 vcc, exec, s[6:7]
	s_cbranch_vccnz .LBB21_440
; %bb.435:
	v_cmp_gt_i16_sdwa s[6:7], v6, v3 src0_sel:BYTE_0 src1_sel:DWORD
	s_and_b64 vcc, exec, s[6:7]
	s_cbranch_vccz .LBB21_437
; %bb.436:
	v_cvt_f64_f32_e32 v[8:9], v2
	s_mov_b64 s[2:3], 0
	global_store_dwordx2 v[0:1], v[8:9], off
.LBB21_437:
	s_andn2_b64 vcc, exec, s[2:3]
	s_cbranch_vccnz .LBB21_439
; %bb.438:
	global_store_dword v[0:1], v2, off
.LBB21_439:
	s_mov_b64 s[2:3], 0
.LBB21_440:
	s_andn2_b64 vcc, exec, s[2:3]
	s_cbranch_vccnz .LBB21_442
; %bb.441:
	v_cvt_f16_f32_e32 v3, v2
	global_store_short v[0:1], v3, off
.LBB21_442:
	s_mov_b64 s[2:3], 0
.LBB21_443:
	s_andn2_b64 vcc, exec, s[2:3]
	s_cbranch_vccnz .LBB21_459
; %bb.444:
	v_mov_b32_e32 v3, 2
	v_cmp_lt_i16_sdwa s[6:7], v6, v3 src0_sel:BYTE_0 src1_sel:DWORD
	s_mov_b64 s[2:3], -1
	s_and_b64 vcc, exec, s[6:7]
	s_cbranch_vccnz .LBB21_454
; %bb.445:
	v_mov_b32_e32 v3, 3
	v_cmp_lt_i16_sdwa s[6:7], v6, v3 src0_sel:BYTE_0 src1_sel:DWORD
	s_and_b64 vcc, exec, s[6:7]
	s_cbranch_vccnz .LBB21_451
; %bb.446:
	v_cmp_gt_i16_sdwa s[6:7], v6, v3 src0_sel:BYTE_0 src1_sel:DWORD
	s_and_b64 vcc, exec, s[6:7]
	s_cbranch_vccz .LBB21_448
; %bb.447:
	v_trunc_f32_e32 v3, v2
	s_mov_b32 s2, 0x2f800000
	v_mul_f32_e64 v4, |v3|, s2
	v_floor_f32_e32 v4, v4
	s_mov_b32 s2, 0xcf800000
	v_cvt_u32_f32_e32 v7, v4
	v_fma_f32 v4, v4, s2, |v3|
	v_cvt_u32_f32_e32 v4, v4
	v_ashrrev_i32_e32 v3, 31, v3
	v_xor_b32_e32 v7, v7, v3
	s_mov_b64 s[2:3], 0
	v_xor_b32_e32 v4, v4, v3
	v_sub_co_u32_e32 v8, vcc, v4, v3
	v_subb_co_u32_e32 v9, vcc, v7, v3, vcc
	global_store_dwordx2 v[0:1], v[8:9], off
.LBB21_448:
	s_andn2_b64 vcc, exec, s[2:3]
	s_cbranch_vccnz .LBB21_450
; %bb.449:
	v_cvt_i32_f32_e32 v3, v2
	global_store_dword v[0:1], v3, off
.LBB21_450:
	s_mov_b64 s[2:3], 0
.LBB21_451:
	s_andn2_b64 vcc, exec, s[2:3]
	s_cbranch_vccnz .LBB21_453
; %bb.452:
	v_cvt_i32_f32_e32 v3, v2
	global_store_short v[0:1], v3, off
.LBB21_453:
	s_mov_b64 s[2:3], 0
.LBB21_454:
	s_andn2_b64 vcc, exec, s[2:3]
	s_cbranch_vccnz .LBB21_459
; %bb.455:
	v_mov_b32_e32 v3, 0
	v_cmp_gt_i16_sdwa s[6:7], v6, v3 src0_sel:BYTE_0 src1_sel:DWORD
	s_mov_b64 s[2:3], -1
	s_and_b64 vcc, exec, s[6:7]
	s_cbranch_vccz .LBB21_457
; %bb.456:
	v_cvt_i32_f32_e32 v3, v2
	s_mov_b64 s[2:3], 0
	global_store_byte v[0:1], v3, off
.LBB21_457:
	s_andn2_b64 vcc, exec, s[2:3]
	s_cbranch_vccnz .LBB21_459
; %bb.458:
	v_trunc_f32_e32 v2, v2
	s_mov_b32 s2, 0x2f800000
	v_mul_f32_e64 v3, |v2|, s2
	v_floor_f32_e32 v3, v3
	s_mov_b32 s2, 0xcf800000
	v_fma_f32 v3, v3, s2, |v2|
	v_cvt_u32_f32_e32 v3, v3
	v_ashrrev_i32_e32 v2, 31, v2
	v_xor_b32_e32 v3, v3, v2
	v_sub_u32_e32 v2, v3, v2
	global_store_byte v[0:1], v2, off
.LBB21_459:
	s_mov_b64 s[2:3], -1
.LBB21_460:
	s_andn2_b64 vcc, exec, s[2:3]
	s_cbranch_vccnz .LBB21_462
; %bb.461:
	v_add_u32_e32 v13, 0x80, v13
	s_mov_b64 s[2:3], -1
	s_branch .LBB21_575
.LBB21_462:
	s_mov_b64 s[2:3], 0
	s_branch .LBB21_574
.LBB21_463:
	s_mov_b64 s[8:9], -1
                                        ; implicit-def: $vgpr1
.LBB21_464:
	s_mov_b64 s[2:3], 0
.LBB21_465:
	s_and_b64 vcc, exec, s[2:3]
	s_cbranch_vccz .LBB21_469
; %bb.466:
	v_cmp_eq_u16_e32 vcc, 29, v5
	s_cbranch_vccz .LBB21_468
; %bb.467:
	global_load_dwordx2 v[8:9], v[2:3], off
	s_mov_b64 s[0:1], -1
	s_mov_b64 s[8:9], 0
	s_mov_b64 s[2:3], 0
	s_waitcnt vmcnt(0)
	v_ffbh_u32_e32 v1, v9
	v_min_u32_e32 v1, 32, v1
	v_lshlrev_b64 v[8:9], v1, v[8:9]
	v_min_u32_e32 v4, 1, v8
	v_or_b32_e32 v4, v9, v4
	v_cvt_f32_u32_e32 v4, v4
	v_sub_u32_e32 v1, 32, v1
	v_ldexp_f32 v1, v4, v1
	s_branch .LBB21_470
.LBB21_468:
	s_mov_b64 s[8:9], -1
                                        ; implicit-def: $vgpr1
.LBB21_469:
	s_mov_b64 s[2:3], 0
.LBB21_470:
	s_and_b64 vcc, exec, s[2:3]
	s_cbranch_vccz .LBB21_488
; %bb.471:
	v_cmp_gt_i16_e32 vcc, 27, v5
	s_cbranch_vccnz .LBB21_474
; %bb.472:
	v_cmp_lt_i16_e32 vcc, 27, v5
	s_cbranch_vccz .LBB21_475
; %bb.473:
	global_load_dword v1, v[2:3], off
	s_mov_b64 s[0:1], 0
	s_waitcnt vmcnt(0)
	v_cvt_f32_u32_e32 v1, v1
	s_branch .LBB21_476
.LBB21_474:
	s_mov_b64 s[0:1], -1
                                        ; implicit-def: $vgpr1
	s_branch .LBB21_479
.LBB21_475:
	s_mov_b64 s[0:1], -1
                                        ; implicit-def: $vgpr1
.LBB21_476:
	s_andn2_b64 vcc, exec, s[0:1]
	s_cbranch_vccnz .LBB21_478
; %bb.477:
	global_load_ushort v1, v[2:3], off
	s_waitcnt vmcnt(0)
	v_cvt_f32_u32_e32 v1, v1
.LBB21_478:
	s_mov_b64 s[0:1], 0
.LBB21_479:
	s_andn2_b64 vcc, exec, s[0:1]
	s_cbranch_vccnz .LBB21_487
; %bb.480:
	global_load_ubyte v4, v[2:3], off
	s_movk_i32 s0, 0x7f
                                        ; implicit-def: $sgpr10
	s_waitcnt vmcnt(0)
	v_cmp_lt_i16_e32 vcc, s0, v4
	s_mov_b64 s[0:1], 0
	s_and_saveexec_b64 s[2:3], vcc
	s_xor_b64 s[2:3], exec, s[2:3]
	s_cbranch_execz .LBB21_501
; %bb.481:
	s_movk_i32 s0, 0x80
	v_cmp_eq_u16_e32 vcc, s0, v4
	s_mov_b64 s[0:1], -1
                                        ; implicit-def: $sgpr10
	s_and_saveexec_b64 s[6:7], vcc
; %bb.482:
	s_mov_b32 s10, 0x7f800001
	s_xor_b64 s[0:1], exec, -1
; %bb.483:
	s_or_b64 exec, exec, s[6:7]
	s_and_b64 s[0:1], s[0:1], exec
	s_or_saveexec_b64 s[2:3], s[2:3]
	v_mov_b32_e32 v1, s10
	s_xor_b64 exec, exec, s[2:3]
	s_cbranch_execnz .LBB21_502
.LBB21_484:
	s_or_b64 exec, exec, s[2:3]
	s_and_saveexec_b64 s[2:3], s[0:1]
	s_cbranch_execz .LBB21_486
.LBB21_485:
	v_lshlrev_b32_e32 v1, 24, v4
	v_and_b32_e32 v4, 0xffff, v4
	v_and_b32_e32 v7, 7, v4
	v_ffbh_u32_e32 v9, v7
	v_min_u32_e32 v9, 32, v9
	v_subrev_u32_e32 v10, 28, v9
	v_bfe_u32 v8, v4, 3, 4
	v_lshlrev_b32_e32 v4, v10, v4
	v_sub_u32_e32 v9, 29, v9
	v_and_b32_e32 v4, 7, v4
	v_cmp_eq_u32_e32 vcc, 0, v8
	v_cndmask_b32_e32 v8, v8, v9, vcc
	v_cndmask_b32_e32 v4, v7, v4, vcc
	v_mov_b32_e32 v7, 0x3b800000
	v_lshlrev_b32_e32 v4, 20, v4
	v_and_b32_e32 v1, 0x80000000, v1
	v_lshl_add_u32 v7, v8, 23, v7
	v_or3_b32 v1, v1, v7, v4
.LBB21_486:
	s_or_b64 exec, exec, s[2:3]
.LBB21_487:
	s_mov_b64 s[0:1], -1
.LBB21_488:
	s_mov_b64 s[2:3], 0
.LBB21_489:
	s_and_b64 vcc, exec, s[2:3]
	s_cbranch_vccz .LBB21_524
; %bb.490:
	v_cmp_lt_i16_e32 vcc, 22, v5
	s_cbranch_vccz .LBB21_500
; %bb.491:
	v_cmp_gt_i16_e32 vcc, 24, v5
	s_cbranch_vccnz .LBB21_503
; %bb.492:
	v_cmp_lt_i16_e32 vcc, 24, v5
	s_cbranch_vccz .LBB21_504
; %bb.493:
	global_load_ubyte v4, v[2:3], off
	s_movk_i32 s0, 0x7f
                                        ; implicit-def: $sgpr10
	s_waitcnt vmcnt(0)
	v_cmp_lt_i16_e32 vcc, s0, v4
	s_mov_b64 s[0:1], 0
	s_and_saveexec_b64 s[2:3], vcc
	s_xor_b64 s[2:3], exec, s[2:3]
	s_cbranch_execz .LBB21_516
; %bb.494:
	s_movk_i32 s0, 0x80
	v_cmp_eq_u16_e32 vcc, s0, v4
	s_mov_b64 s[0:1], -1
                                        ; implicit-def: $sgpr10
	s_and_saveexec_b64 s[6:7], vcc
; %bb.495:
	s_mov_b32 s10, 0x7f800001
	s_xor_b64 s[0:1], exec, -1
; %bb.496:
	s_or_b64 exec, exec, s[6:7]
	s_and_b64 s[0:1], s[0:1], exec
	s_or_saveexec_b64 s[2:3], s[2:3]
	v_mov_b32_e32 v1, s10
	s_xor_b64 exec, exec, s[2:3]
	s_cbranch_execnz .LBB21_517
.LBB21_497:
	s_or_b64 exec, exec, s[2:3]
	s_and_saveexec_b64 s[2:3], s[0:1]
	s_cbranch_execz .LBB21_499
.LBB21_498:
	v_lshlrev_b32_e32 v1, 24, v4
	v_and_b32_e32 v4, 0xffff, v4
	v_and_b32_e32 v7, 3, v4
	v_ffbh_u32_e32 v9, v7
	v_min_u32_e32 v9, 32, v9
	v_subrev_u32_e32 v10, 29, v9
	v_bfe_u32 v8, v4, 2, 5
	v_lshlrev_b32_e32 v4, v10, v4
	v_sub_u32_e32 v9, 30, v9
	v_and_b32_e32 v4, 3, v4
	v_cmp_eq_u32_e32 vcc, 0, v8
	v_cndmask_b32_e32 v8, v8, v9, vcc
	v_cndmask_b32_e32 v4, v7, v4, vcc
	v_mov_b32_e32 v7, 0x37800000
	v_lshlrev_b32_e32 v4, 21, v4
	v_and_b32_e32 v1, 0x80000000, v1
	v_lshl_add_u32 v7, v8, 23, v7
	v_or3_b32 v1, v1, v7, v4
.LBB21_499:
	s_or_b64 exec, exec, s[2:3]
	s_mov_b64 s[0:1], 0
	s_branch .LBB21_505
.LBB21_500:
	s_mov_b64 s[2:3], -1
                                        ; implicit-def: $vgpr1
	s_branch .LBB21_511
.LBB21_501:
	s_or_saveexec_b64 s[2:3], s[2:3]
	v_mov_b32_e32 v1, s10
	s_xor_b64 exec, exec, s[2:3]
	s_cbranch_execz .LBB21_484
.LBB21_502:
	v_cmp_ne_u16_e32 vcc, 0, v4
	s_andn2_b64 s[0:1], s[0:1], exec
	s_and_b64 s[6:7], vcc, exec
	v_mov_b32_e32 v1, 0
	s_or_b64 s[0:1], s[0:1], s[6:7]
	s_or_b64 exec, exec, s[2:3]
	s_and_saveexec_b64 s[2:3], s[0:1]
	s_cbranch_execnz .LBB21_485
	s_branch .LBB21_486
.LBB21_503:
	s_mov_b64 s[0:1], -1
                                        ; implicit-def: $vgpr1
	s_branch .LBB21_508
.LBB21_504:
	s_mov_b64 s[0:1], -1
                                        ; implicit-def: $vgpr1
.LBB21_505:
	s_and_b64 vcc, exec, s[0:1]
	s_cbranch_vccz .LBB21_507
; %bb.506:
	global_load_ubyte v1, v[2:3], off
	s_mov_b32 s0, 0x7f800000
	s_waitcnt vmcnt(0)
	v_lshlrev_b32_e32 v1, 24, v1
	v_and_b32_e32 v4, 0x7f000000, v1
	v_ffbh_u32_e32 v7, v4
	v_min_u32_e32 v7, 32, v7
	v_sub_u32_e64 v7, v7, 4 clamp
	v_lshlrev_b32_e32 v9, v7, v4
	v_lshlrev_b32_e32 v7, 23, v7
	v_lshrrev_b32_e32 v9, 4, v9
	v_add_u32_e32 v8, 0x1000000, v4
	v_sub_u32_e32 v7, v9, v7
	v_ashrrev_i32_e32 v8, 8, v8
	v_add_u32_e32 v7, 0x3c000000, v7
	v_and_or_b32 v7, v8, s0, v7
	v_cmp_ne_u32_e32 vcc, 0, v4
	v_cndmask_b32_e32 v4, 0, v7, vcc
	s_brev_b32 s0, 1
	v_and_or_b32 v1, v1, s0, v4
.LBB21_507:
	s_mov_b64 s[0:1], 0
.LBB21_508:
	s_andn2_b64 vcc, exec, s[0:1]
	s_cbranch_vccnz .LBB21_510
; %bb.509:
	global_load_ubyte v1, v[2:3], off
	s_movk_i32 s0, 0x7f00
	s_brev_b32 s1, 16
	s_waitcnt vmcnt(0)
	v_lshlrev_b16_e32 v4, 8, v1
	v_lshlrev_b32_e32 v1, 25, v1
	v_lshrrev_b32_e32 v7, 4, v1
	v_and_or_b32 v8, v4, s0, 0.5
	v_or_b32_e32 v7, 0x70000000, v7
	v_add_f32_e32 v8, -0.5, v8
	v_mul_f32_e32 v7, 0x7800000, v7
	v_cmp_gt_u32_e32 vcc, s1, v1
	v_bfe_i32 v4, v4, 0, 16
	v_cndmask_b32_e32 v1, v7, v8, vcc
	s_brev_b32 s0, 1
	v_and_or_b32 v1, v4, s0, v1
.LBB21_510:
	s_mov_b64 s[2:3], 0
	s_mov_b64 s[0:1], -1
.LBB21_511:
	s_andn2_b64 vcc, exec, s[2:3]
	s_cbranch_vccnz .LBB21_524
; %bb.512:
	v_cmp_lt_i16_e32 vcc, 14, v5
	s_cbranch_vccz .LBB21_515
; %bb.513:
	v_cmp_eq_u16_e32 vcc, 15, v5
	s_cbranch_vccz .LBB21_518
; %bb.514:
	global_load_ushort v1, v[2:3], off
	s_mov_b64 s[0:1], -1
	s_mov_b64 s[8:9], 0
	s_waitcnt vmcnt(0)
	v_lshlrev_b32_e32 v1, 16, v1
	s_branch .LBB21_519
.LBB21_515:
	s_mov_b64 s[2:3], -1
                                        ; implicit-def: $vgpr1
	s_branch .LBB21_520
.LBB21_516:
	s_or_saveexec_b64 s[2:3], s[2:3]
	v_mov_b32_e32 v1, s10
	s_xor_b64 exec, exec, s[2:3]
	s_cbranch_execz .LBB21_497
.LBB21_517:
	v_cmp_ne_u16_e32 vcc, 0, v4
	s_andn2_b64 s[0:1], s[0:1], exec
	s_and_b64 s[6:7], vcc, exec
	v_mov_b32_e32 v1, 0
	s_or_b64 s[0:1], s[0:1], s[6:7]
	s_or_b64 exec, exec, s[2:3]
	s_and_saveexec_b64 s[2:3], s[0:1]
	s_cbranch_execnz .LBB21_498
	s_branch .LBB21_499
.LBB21_518:
	s_mov_b64 s[8:9], -1
                                        ; implicit-def: $vgpr1
.LBB21_519:
	s_mov_b64 s[2:3], 0
.LBB21_520:
	s_and_b64 vcc, exec, s[2:3]
	s_cbranch_vccz .LBB21_524
; %bb.521:
	v_cmp_eq_u16_e32 vcc, 11, v5
	s_cbranch_vccz .LBB21_523
; %bb.522:
	global_load_ubyte v1, v[2:3], off
	s_mov_b64 s[0:1], -1
	s_mov_b64 s[8:9], 0
	s_waitcnt vmcnt(0)
	v_cmp_ne_u16_e32 vcc, 0, v1
	v_cndmask_b32_e64 v1, 0, 1.0, vcc
	s_branch .LBB21_524
.LBB21_523:
	s_mov_b64 s[8:9], -1
                                        ; implicit-def: $vgpr1
.LBB21_524:
	s_branch .LBB21_311
.LBB21_525:
	v_cmp_gt_i16_e32 vcc, 5, v5
	s_cbranch_vccnz .LBB21_530
; %bb.526:
	v_cmp_gt_i16_e32 vcc, 8, v5
	s_cbranch_vccnz .LBB21_531
; %bb.527:
	;; [unrolled: 3-line block ×3, first 2 shown]
	v_cmp_lt_i16_e32 vcc, 9, v5
	s_cbranch_vccz .LBB21_533
; %bb.529:
	global_load_dwordx2 v[8:9], v[2:3], off
	s_mov_b64 s[0:1], 0
	s_waitcnt vmcnt(0)
	v_cvt_f32_f64_e32 v1, v[8:9]
	s_branch .LBB21_534
.LBB21_530:
	s_mov_b64 s[0:1], -1
                                        ; implicit-def: $vgpr1
	s_branch .LBB21_552
.LBB21_531:
	s_mov_b64 s[0:1], -1
                                        ; implicit-def: $vgpr1
	s_branch .LBB21_540
.LBB21_532:
	s_mov_b64 s[0:1], -1
                                        ; implicit-def: $vgpr1
	s_branch .LBB21_537
.LBB21_533:
	s_mov_b64 s[0:1], -1
                                        ; implicit-def: $vgpr1
.LBB21_534:
	s_andn2_b64 vcc, exec, s[0:1]
	s_cbranch_vccnz .LBB21_536
; %bb.535:
	global_load_dword v1, v[2:3], off
.LBB21_536:
	s_mov_b64 s[0:1], 0
.LBB21_537:
	s_andn2_b64 vcc, exec, s[0:1]
	s_cbranch_vccnz .LBB21_539
; %bb.538:
	global_load_dword v1, v[2:3], off
	s_waitcnt vmcnt(0)
	v_cvt_f32_f16_e32 v1, v1
.LBB21_539:
	s_mov_b64 s[0:1], 0
.LBB21_540:
	s_andn2_b64 vcc, exec, s[0:1]
	s_cbranch_vccnz .LBB21_551
; %bb.541:
	v_cmp_gt_i16_e32 vcc, 6, v5
	s_cbranch_vccnz .LBB21_544
; %bb.542:
	v_cmp_lt_i16_e32 vcc, 6, v5
	s_cbranch_vccz .LBB21_545
; %bb.543:
	global_load_dwordx2 v[8:9], v[2:3], off
	s_mov_b64 s[0:1], 0
	s_waitcnt vmcnt(0)
	v_cvt_f32_f64_e32 v1, v[8:9]
	s_branch .LBB21_546
.LBB21_544:
	s_mov_b64 s[0:1], -1
                                        ; implicit-def: $vgpr1
	s_branch .LBB21_549
.LBB21_545:
	s_mov_b64 s[0:1], -1
                                        ; implicit-def: $vgpr1
.LBB21_546:
	s_andn2_b64 vcc, exec, s[0:1]
	s_cbranch_vccnz .LBB21_548
; %bb.547:
	global_load_dword v1, v[2:3], off
.LBB21_548:
	s_mov_b64 s[0:1], 0
.LBB21_549:
	s_andn2_b64 vcc, exec, s[0:1]
	s_cbranch_vccnz .LBB21_551
; %bb.550:
	global_load_ushort v1, v[2:3], off
	s_waitcnt vmcnt(0)
	v_cvt_f32_f16_e32 v1, v1
.LBB21_551:
	s_mov_b64 s[0:1], 0
.LBB21_552:
	s_andn2_b64 vcc, exec, s[0:1]
	s_cbranch_vccnz .LBB21_572
; %bb.553:
	v_cmp_gt_i16_e32 vcc, 2, v5
	s_cbranch_vccnz .LBB21_557
; %bb.554:
	v_cmp_gt_i16_e32 vcc, 3, v5
	s_cbranch_vccnz .LBB21_558
; %bb.555:
	v_cmp_lt_i16_e32 vcc, 3, v5
	s_cbranch_vccz .LBB21_559
; %bb.556:
	global_load_dwordx2 v[8:9], v[2:3], off
	s_mov_b64 s[0:1], 0
	s_waitcnt vmcnt(0)
	v_xor_b32_e32 v4, v8, v9
	v_ffbh_i32_e32 v1, v9
	v_ashrrev_i32_e32 v4, 31, v4
	v_add_u32_e32 v1, -1, v1
	v_add_u32_e32 v4, 32, v4
	v_min_u32_e32 v1, v1, v4
	v_lshlrev_b64 v[8:9], v1, v[8:9]
	v_min_u32_e32 v4, 1, v8
	v_or_b32_e32 v4, v9, v4
	v_cvt_f32_i32_e32 v4, v4
	v_sub_u32_e32 v1, 32, v1
	v_ldexp_f32 v1, v4, v1
	s_branch .LBB21_560
.LBB21_557:
	s_mov_b64 s[0:1], -1
                                        ; implicit-def: $vgpr1
	s_branch .LBB21_566
.LBB21_558:
	s_mov_b64 s[0:1], -1
                                        ; implicit-def: $vgpr1
	s_branch .LBB21_563
.LBB21_559:
	s_mov_b64 s[0:1], -1
                                        ; implicit-def: $vgpr1
.LBB21_560:
	s_andn2_b64 vcc, exec, s[0:1]
	s_cbranch_vccnz .LBB21_562
; %bb.561:
	global_load_dword v1, v[2:3], off
	s_waitcnt vmcnt(0)
	v_cvt_f32_i32_e32 v1, v1
.LBB21_562:
	s_mov_b64 s[0:1], 0
.LBB21_563:
	s_andn2_b64 vcc, exec, s[0:1]
	s_cbranch_vccnz .LBB21_565
; %bb.564:
	global_load_sshort v1, v[2:3], off
	s_waitcnt vmcnt(0)
	v_cvt_f32_i32_e32 v1, v1
.LBB21_565:
	s_mov_b64 s[0:1], 0
.LBB21_566:
	s_andn2_b64 vcc, exec, s[0:1]
	s_cbranch_vccnz .LBB21_572
; %bb.567:
	v_cmp_lt_i16_e32 vcc, 0, v5
	s_cbranch_vccz .LBB21_569
; %bb.568:
	global_load_sbyte v1, v[2:3], off
	s_mov_b64 s[0:1], 0
	s_waitcnt vmcnt(0)
	v_cvt_f32_i32_e32 v1, v1
	s_branch .LBB21_570
.LBB21_569:
	s_mov_b64 s[0:1], -1
                                        ; implicit-def: $vgpr1
.LBB21_570:
	s_andn2_b64 vcc, exec, s[0:1]
	s_cbranch_vccnz .LBB21_572
; %bb.571:
	global_load_ubyte v1, v[2:3], off
	s_waitcnt vmcnt(0)
	v_cvt_f32_ubyte0_e32 v1, v1
.LBB21_572:
	s_branch .LBB21_312
.LBB21_573:
	s_mov_b64 s[2:3], 0
	s_mov_b64 s[0:1], s[54:55]
.LBB21_574:
                                        ; implicit-def: $vgpr13
.LBB21_575:
	s_andn2_b64 s[6:7], s[54:55], exec
	s_and_b64 s[0:1], s[0:1], exec
	s_or_b64 s[62:63], s[6:7], s[0:1]
	s_andn2_b64 s[0:1], s[56:57], exec
	s_and_b64 s[6:7], s[8:9], exec
	s_or_b64 s[60:61], s[0:1], s[6:7]
	s_orn2_b64 s[0:1], s[2:3], exec
.LBB21_576:
	s_or_b64 exec, exec, s[64:65]
	s_mov_b64 s[2:3], 0
	s_mov_b64 s[8:9], 0
	;; [unrolled: 1-line block ×3, first 2 shown]
                                        ; implicit-def: $vgpr2_vgpr3
                                        ; implicit-def: $vgpr0
                                        ; implicit-def: $vgpr7
	s_and_saveexec_b64 s[64:65], s[0:1]
	s_cbranch_execz .LBB21_969
; %bb.577:
	v_cmp_gt_i32_e32 vcc, s72, v13
	s_mov_b64 s[2:3], -1
	s_mov_b64 s[6:7], s[60:61]
	s_mov_b64 s[68:69], s[62:63]
	s_and_saveexec_b64 s[66:67], vcc
	s_cbranch_execz .LBB21_868
; %bb.578:
	s_andn2_b64 vcc, exec, s[42:43]
	s_cbranch_vccnz .LBB21_584
; %bb.579:
	s_mov_b32 s6, 0
	s_andn2_b64 vcc, exec, s[52:53]
	v_mov_b32_e32 v2, 0
	v_mov_b32_e32 v0, 0
	s_cbranch_vccnz .LBB21_590
; %bb.580:
	s_add_i32 s75, s73, 1
	s_cmp_eq_u32 s74, 2
	s_cbranch_scc1 .LBB21_585
; %bb.581:
	s_and_b32 s6, s75, 28
	s_mov_b32 s7, 0
	v_mov_b32_e32 v0, 0
	s_mov_b64 s[68:69], s[34:35]
	s_mov_b64 s[70:71], s[50:51]
	v_mov_b32_e32 v3, v13
	v_mov_b32_e32 v2, 0
.LBB21_582:                             ; =>This Inner Loop Header: Depth=1
	s_load_dwordx8 s[16:23], s[68:69], 0x4
	s_load_dwordx4 s[0:3], s[68:69], 0x24
	s_load_dwordx8 s[8:15], s[70:71], 0x0
	s_add_u32 s68, s68, 48
	s_addc_u32 s69, s69, 0
	s_waitcnt vmcnt(0) lgkmcnt(0)
	v_mul_hi_u32 v1, s17, v3
	v_add_u32_e32 v1, v3, v1
	v_lshrrev_b32_e32 v1, s18, v1
	v_mul_lo_u32 v4, v1, s16
	v_mul_hi_u32 v7, s20, v1
	v_sub_u32_e32 v3, v3, v4
	v_add_u32_e32 v4, v1, v7
	v_lshrrev_b32_e32 v4, s21, v4
	v_mul_lo_u32 v8, v4, s19
	v_mul_hi_u32 v9, s23, v4
	v_sub_u32_e32 v1, v1, v8
	v_add_u32_e32 v8, v4, v9
	v_mul_lo_u32 v7, v3, s9
	v_mul_lo_u32 v3, v3, s8
	;; [unrolled: 1-line block ×4, first 2 shown]
	v_lshrrev_b32_e32 v8, s0, v8
	v_add3_u32 v0, v3, v0, v1
	v_mul_hi_u32 v3, s2, v8
	v_add_u32_e32 v3, v8, v3
	v_lshrrev_b32_e32 v3, s3, v3
	s_add_i32 s7, s7, 4
	v_add3_u32 v1, v7, v2, v9
	v_mul_lo_u32 v2, v8, s22
	v_mul_lo_u32 v7, v3, s1
	s_add_u32 s70, s70, 32
	v_sub_u32_e32 v2, v4, v2
	v_sub_u32_e32 v7, v8, v7
	s_addc_u32 s71, s71, 0
	v_mul_lo_u32 v4, v2, s12
	v_mul_lo_u32 v2, v2, s13
	;; [unrolled: 1-line block ×4, first 2 shown]
	s_cmp_eq_u32 s6, s7
	v_add3_u32 v2, v2, v1, v7
	v_add3_u32 v0, v4, v0, v8
	s_cbranch_scc0 .LBB21_582
; %bb.583:
	v_mov_b32_e32 v1, v2
	s_branch .LBB21_586
.LBB21_584:
	s_mov_b64 s[0:1], -1
                                        ; implicit-def: $vgpr2
                                        ; implicit-def: $vgpr0
	s_branch .LBB21_591
.LBB21_585:
	s_mov_b32 s7, s6
	s_waitcnt vmcnt(0)
	v_pk_mov_b32 v[0:1], s[6:7], s[6:7] op_sel:[0,1]
                                        ; implicit-def: $vgpr2
	v_mov_b32_e32 v3, v13
.LBB21_586:
	s_and_b32 s7, s75, 3
	s_cmp_eq_u32 s7, 0
	s_cbranch_scc1 .LBB21_590
; %bb.587:
	s_lshl_b32 s0, s6, 3
	s_add_u32 s0, s0, s34
	s_addc_u32 s1, s35, 0
	s_add_u32 s0, s0, 0xc4
	s_addc_u32 s1, s1, 0
	s_mul_i32 s2, s6, 12
	s_add_u32 s2, s34, s2
	s_addc_u32 s3, s35, 0
.LBB21_588:                             ; =>This Inner Loop Header: Depth=1
	s_load_dwordx2 s[8:9], s[2:3], 0x4
	s_load_dword s6, s[2:3], 0xc
	s_load_dwordx2 s[10:11], s[0:1], 0x0
	v_mov_b32_e32 v2, v1
	s_add_u32 s2, s2, 12
	s_waitcnt lgkmcnt(0)
	v_mul_hi_u32 v1, s9, v3
	v_add_u32_e32 v1, v3, v1
	v_lshrrev_b32_e32 v1, s6, v1
	s_addc_u32 s3, s3, 0
	v_mul_lo_u32 v4, v1, s8
	s_add_u32 s0, s0, 8
	v_sub_u32_e32 v4, v3, v4
	v_mov_b32_e32 v3, v1
	s_addc_u32 s1, s1, 0
	s_add_i32 s7, s7, -1
	v_mad_u64_u32 v[8:9], s[8:9], v4, s11, v[2:3]
	v_mad_u64_u32 v[0:1], s[8:9], v4, s10, v[0:1]
	s_cmp_lg_u32 s7, 0
	v_mov_b32_e32 v1, v8
	s_cbranch_scc1 .LBB21_588
; %bb.589:
	v_mov_b32_e32 v2, v1
.LBB21_590:
	s_mov_b64 s[0:1], 0
.LBB21_591:
	s_andn2_b64 vcc, exec, s[0:1]
	s_cbranch_vccnz .LBB21_594
; %bb.592:
	s_waitcnt lgkmcnt(0)
	v_mul_hi_u32 v0, s37, v13
	v_add_u32_e32 v0, v13, v0
	s_waitcnt vmcnt(0)
	v_lshrrev_b32_e32 v1, s38, v0
	v_mul_lo_u32 v0, v1, s36
	v_sub_u32_e32 v0, v13, v0
	v_mul_lo_u32 v2, v0, s29
	s_andn2_b64 vcc, exec, s[48:49]
	v_mul_lo_u32 v0, v0, s28
	s_cbranch_vccnz .LBB21_594
; %bb.593:
	v_mul_hi_u32 v3, s46, v1
	v_add_u32_e32 v3, v1, v3
	v_lshrrev_b32_e32 v3, s47, v3
	v_mul_lo_u32 v3, v3, s39
	v_sub_u32_e32 v3, v1, v3
	v_mad_u64_u32 v[0:1], s[0:1], v3, s30, v[0:1]
	v_mad_u64_u32 v[2:3], s[0:1], v3, s31, v[2:3]
.LBB21_594:
	s_waitcnt vmcnt(0) lgkmcnt(0)
	v_mov_b32_e32 v1, s27
	v_add_co_u32_e32 v2, vcc, s26, v2
	v_addc_co_u32_e32 v3, vcc, 0, v1, vcc
	v_cmp_gt_i16_e32 vcc, 11, v5
	s_cbranch_vccnz .LBB21_601
; %bb.595:
	v_cmp_lt_i16_e32 vcc, 25, v5
	s_cbranch_vccz .LBB21_602
; %bb.596:
	v_cmp_lt_i16_e32 vcc, 28, v5
	s_cbranch_vccz .LBB21_603
	;; [unrolled: 3-line block ×4, first 2 shown]
; %bb.599:
	v_cmp_eq_u16_e32 vcc, 46, v5
	s_mov_b64 s[2:3], 0
	s_cbranch_vccz .LBB21_610
; %bb.600:
	global_load_dword v1, v[2:3], off
	s_mov_b64 s[0:1], -1
	s_mov_b64 s[8:9], 0
	s_waitcnt vmcnt(0)
	v_lshlrev_b32_e32 v1, 16, v1
	s_branch .LBB21_611
.LBB21_601:
	s_mov_b64 s[2:3], -1
	s_mov_b64 s[0:1], 0
                                        ; implicit-def: $vgpr1
	s_mov_b64 s[8:9], s[60:61]
	s_branch .LBB21_676
.LBB21_602:
	s_mov_b64 s[2:3], -1
	s_mov_b64 s[0:1], 0
	s_mov_b64 s[8:9], s[60:61]
                                        ; implicit-def: $vgpr1
	s_branch .LBB21_640
.LBB21_603:
	s_mov_b64 s[2:3], -1
	s_mov_b64 s[0:1], 0
	s_mov_b64 s[8:9], s[60:61]
                                        ; implicit-def: $vgpr1
	s_branch .LBB21_621
.LBB21_604:
	s_mov_b64 s[2:3], -1
	s_mov_b64 s[0:1], 0
	s_mov_b64 s[8:9], s[60:61]
                                        ; implicit-def: $vgpr1
	s_branch .LBB21_616
.LBB21_605:
	s_or_saveexec_b64 s[10:11], s[10:11]
                                        ; implicit-def: $sgpr12
	s_xor_b64 exec, exec, s[10:11]
	s_cbranch_execz .LBB21_373
.LBB21_606:
	s_mov_b32 s12, 0x46000000
	v_add_f32_e64 v3, |v2|, s12
	v_and_b32_e32 v3, 0xff, v3
	v_cmp_ne_u32_e32 vcc, 0, v3
	s_andn2_b64 s[6:7], s[6:7], exec
	s_and_b64 s[14:15], vcc, exec
	s_mov_b32 s12, 0
	s_or_b64 s[6:7], s[6:7], s[14:15]
	s_or_b64 exec, exec, s[10:11]
	v_mov_b32_e32 v4, s12
	s_and_saveexec_b64 s[10:11], s[6:7]
	s_cbranch_execnz .LBB21_374
	s_branch .LBB21_375
.LBB21_607:
	s_mov_b64 s[2:3], -1
	s_mov_b64 s[0:1], 0
	s_mov_b64 s[8:9], s[60:61]
                                        ; implicit-def: $vgpr1
	s_branch .LBB21_611
.LBB21_608:
	s_or_saveexec_b64 s[10:11], s[10:11]
                                        ; implicit-def: $sgpr12
	s_xor_b64 exec, exec, s[10:11]
	s_cbranch_execz .LBB21_386
.LBB21_609:
	s_mov_b32 s12, 0x42800000
	v_add_f32_e64 v3, |v2|, s12
	v_and_b32_e32 v3, 0xff, v3
	v_cmp_ne_u32_e32 vcc, 0, v3
	s_andn2_b64 s[6:7], s[6:7], exec
	s_and_b64 s[14:15], vcc, exec
	s_mov_b32 s12, 0
	s_or_b64 s[6:7], s[6:7], s[14:15]
	s_or_b64 exec, exec, s[10:11]
	v_mov_b32_e32 v4, s12
	s_and_saveexec_b64 s[10:11], s[6:7]
	s_cbranch_execnz .LBB21_387
	s_branch .LBB21_388
.LBB21_610:
	s_mov_b64 s[8:9], -1
                                        ; implicit-def: $vgpr1
	s_mov_b64 s[0:1], 0
.LBB21_611:
	s_and_b64 vcc, exec, s[2:3]
	s_cbranch_vccz .LBB21_615
; %bb.612:
	v_cmp_eq_u16_e32 vcc, 44, v5
	s_cbranch_vccz .LBB21_614
; %bb.613:
	global_load_ubyte v1, v[2:3], off
	s_movk_i32 s2, 0xff
	v_mov_b32_e32 v4, 0x7f800001
	v_mov_b32_e32 v7, 0x400000
	s_mov_b64 s[0:1], -1
	s_mov_b64 s[8:9], 0
	s_waitcnt vmcnt(0)
	v_lshlrev_b32_e32 v8, 23, v1
	v_cmp_ne_u32_e32 vcc, s2, v1
	v_cndmask_b32_e32 v4, v4, v8, vcc
	v_cmp_ne_u32_e32 vcc, 0, v1
	v_cndmask_b32_e32 v1, v7, v4, vcc
	s_branch .LBB21_615
.LBB21_614:
	s_mov_b64 s[8:9], -1
                                        ; implicit-def: $vgpr1
.LBB21_615:
	s_mov_b64 s[2:3], 0
.LBB21_616:
	s_and_b64 vcc, exec, s[2:3]
	s_cbranch_vccz .LBB21_620
; %bb.617:
	v_cmp_eq_u16_e32 vcc, 29, v5
	s_cbranch_vccz .LBB21_619
; %bb.618:
	global_load_dwordx2 v[8:9], v[2:3], off
	s_mov_b64 s[0:1], -1
	s_mov_b64 s[8:9], 0
	s_mov_b64 s[2:3], 0
	s_waitcnt vmcnt(0)
	v_ffbh_u32_e32 v1, v9
	v_min_u32_e32 v1, 32, v1
	v_lshlrev_b64 v[8:9], v1, v[8:9]
	v_min_u32_e32 v4, 1, v8
	v_or_b32_e32 v4, v9, v4
	v_cvt_f32_u32_e32 v4, v4
	v_sub_u32_e32 v1, 32, v1
	v_ldexp_f32 v1, v4, v1
	s_branch .LBB21_621
.LBB21_619:
	s_mov_b64 s[8:9], -1
                                        ; implicit-def: $vgpr1
.LBB21_620:
	s_mov_b64 s[2:3], 0
.LBB21_621:
	s_and_b64 vcc, exec, s[2:3]
	s_cbranch_vccz .LBB21_639
; %bb.622:
	v_cmp_gt_i16_e32 vcc, 27, v5
	s_cbranch_vccnz .LBB21_625
; %bb.623:
	v_cmp_lt_i16_e32 vcc, 27, v5
	s_cbranch_vccz .LBB21_626
; %bb.624:
	global_load_dword v1, v[2:3], off
	s_mov_b64 s[0:1], 0
	s_waitcnt vmcnt(0)
	v_cvt_f32_u32_e32 v1, v1
	s_branch .LBB21_627
.LBB21_625:
	s_mov_b64 s[0:1], -1
                                        ; implicit-def: $vgpr1
	s_branch .LBB21_630
.LBB21_626:
	s_mov_b64 s[0:1], -1
                                        ; implicit-def: $vgpr1
.LBB21_627:
	s_andn2_b64 vcc, exec, s[0:1]
	s_cbranch_vccnz .LBB21_629
; %bb.628:
	global_load_ushort v1, v[2:3], off
	s_waitcnt vmcnt(0)
	v_cvt_f32_u32_e32 v1, v1
.LBB21_629:
	s_mov_b64 s[0:1], 0
.LBB21_630:
	s_andn2_b64 vcc, exec, s[0:1]
	s_cbranch_vccnz .LBB21_638
; %bb.631:
	global_load_ubyte v4, v[2:3], off
	s_movk_i32 s0, 0x7f
                                        ; implicit-def: $sgpr10
	s_waitcnt vmcnt(0)
	v_cmp_lt_i16_e32 vcc, s0, v4
	s_mov_b64 s[0:1], 0
	s_and_saveexec_b64 s[2:3], vcc
	s_xor_b64 s[2:3], exec, s[2:3]
	s_cbranch_execz .LBB21_652
; %bb.632:
	s_movk_i32 s0, 0x80
	v_cmp_eq_u16_e32 vcc, s0, v4
	s_mov_b64 s[0:1], -1
                                        ; implicit-def: $sgpr10
	s_and_saveexec_b64 s[6:7], vcc
; %bb.633:
	s_mov_b32 s10, 0x7f800001
	s_xor_b64 s[0:1], exec, -1
; %bb.634:
	s_or_b64 exec, exec, s[6:7]
	s_and_b64 s[0:1], s[0:1], exec
	s_or_saveexec_b64 s[2:3], s[2:3]
	v_mov_b32_e32 v1, s10
	s_xor_b64 exec, exec, s[2:3]
	s_cbranch_execnz .LBB21_653
.LBB21_635:
	s_or_b64 exec, exec, s[2:3]
	s_and_saveexec_b64 s[2:3], s[0:1]
	s_cbranch_execz .LBB21_637
.LBB21_636:
	v_lshlrev_b32_e32 v1, 24, v4
	v_and_b32_e32 v4, 0xffff, v4
	v_and_b32_e32 v7, 7, v4
	v_ffbh_u32_e32 v9, v7
	v_min_u32_e32 v9, 32, v9
	v_subrev_u32_e32 v10, 28, v9
	v_bfe_u32 v8, v4, 3, 4
	v_lshlrev_b32_e32 v4, v10, v4
	v_sub_u32_e32 v9, 29, v9
	v_and_b32_e32 v4, 7, v4
	v_cmp_eq_u32_e32 vcc, 0, v8
	v_cndmask_b32_e32 v8, v8, v9, vcc
	v_cndmask_b32_e32 v4, v7, v4, vcc
	v_mov_b32_e32 v7, 0x3b800000
	v_lshlrev_b32_e32 v4, 20, v4
	v_and_b32_e32 v1, 0x80000000, v1
	v_lshl_add_u32 v7, v8, 23, v7
	v_or3_b32 v1, v1, v7, v4
.LBB21_637:
	s_or_b64 exec, exec, s[2:3]
.LBB21_638:
	s_mov_b64 s[0:1], -1
.LBB21_639:
	s_mov_b64 s[2:3], 0
.LBB21_640:
	s_and_b64 vcc, exec, s[2:3]
	s_cbranch_vccz .LBB21_675
; %bb.641:
	v_cmp_lt_i16_e32 vcc, 22, v5
	s_cbranch_vccz .LBB21_651
; %bb.642:
	v_cmp_gt_i16_e32 vcc, 24, v5
	s_cbranch_vccnz .LBB21_654
; %bb.643:
	v_cmp_lt_i16_e32 vcc, 24, v5
	s_cbranch_vccz .LBB21_655
; %bb.644:
	global_load_ubyte v4, v[2:3], off
	s_movk_i32 s0, 0x7f
                                        ; implicit-def: $sgpr10
	s_waitcnt vmcnt(0)
	v_cmp_lt_i16_e32 vcc, s0, v4
	s_mov_b64 s[0:1], 0
	s_and_saveexec_b64 s[2:3], vcc
	s_xor_b64 s[2:3], exec, s[2:3]
	s_cbranch_execz .LBB21_667
; %bb.645:
	s_movk_i32 s0, 0x80
	v_cmp_eq_u16_e32 vcc, s0, v4
	s_mov_b64 s[0:1], -1
                                        ; implicit-def: $sgpr10
	s_and_saveexec_b64 s[6:7], vcc
; %bb.646:
	s_mov_b32 s10, 0x7f800001
	s_xor_b64 s[0:1], exec, -1
; %bb.647:
	s_or_b64 exec, exec, s[6:7]
	s_and_b64 s[0:1], s[0:1], exec
	s_or_saveexec_b64 s[2:3], s[2:3]
	v_mov_b32_e32 v1, s10
	s_xor_b64 exec, exec, s[2:3]
	s_cbranch_execnz .LBB21_668
.LBB21_648:
	s_or_b64 exec, exec, s[2:3]
	s_and_saveexec_b64 s[2:3], s[0:1]
	s_cbranch_execz .LBB21_650
.LBB21_649:
	v_lshlrev_b32_e32 v1, 24, v4
	v_and_b32_e32 v4, 0xffff, v4
	v_and_b32_e32 v7, 3, v4
	v_ffbh_u32_e32 v9, v7
	v_min_u32_e32 v9, 32, v9
	v_subrev_u32_e32 v10, 29, v9
	v_bfe_u32 v8, v4, 2, 5
	v_lshlrev_b32_e32 v4, v10, v4
	v_sub_u32_e32 v9, 30, v9
	v_and_b32_e32 v4, 3, v4
	v_cmp_eq_u32_e32 vcc, 0, v8
	v_cndmask_b32_e32 v8, v8, v9, vcc
	v_cndmask_b32_e32 v4, v7, v4, vcc
	v_mov_b32_e32 v7, 0x37800000
	v_lshlrev_b32_e32 v4, 21, v4
	v_and_b32_e32 v1, 0x80000000, v1
	v_lshl_add_u32 v7, v8, 23, v7
	v_or3_b32 v1, v1, v7, v4
.LBB21_650:
	s_or_b64 exec, exec, s[2:3]
	s_mov_b64 s[0:1], 0
	s_branch .LBB21_656
.LBB21_651:
	s_mov_b64 s[2:3], -1
                                        ; implicit-def: $vgpr1
	s_branch .LBB21_662
.LBB21_652:
	s_or_saveexec_b64 s[2:3], s[2:3]
	v_mov_b32_e32 v1, s10
	s_xor_b64 exec, exec, s[2:3]
	s_cbranch_execz .LBB21_635
.LBB21_653:
	v_cmp_ne_u16_e32 vcc, 0, v4
	s_andn2_b64 s[0:1], s[0:1], exec
	s_and_b64 s[6:7], vcc, exec
	v_mov_b32_e32 v1, 0
	s_or_b64 s[0:1], s[0:1], s[6:7]
	s_or_b64 exec, exec, s[2:3]
	s_and_saveexec_b64 s[2:3], s[0:1]
	s_cbranch_execnz .LBB21_636
	s_branch .LBB21_637
.LBB21_654:
	s_mov_b64 s[0:1], -1
                                        ; implicit-def: $vgpr1
	s_branch .LBB21_659
.LBB21_655:
	s_mov_b64 s[0:1], -1
                                        ; implicit-def: $vgpr1
.LBB21_656:
	s_and_b64 vcc, exec, s[0:1]
	s_cbranch_vccz .LBB21_658
; %bb.657:
	global_load_ubyte v1, v[2:3], off
	s_mov_b32 s0, 0x7f800000
	s_waitcnt vmcnt(0)
	v_lshlrev_b32_e32 v1, 24, v1
	v_and_b32_e32 v4, 0x7f000000, v1
	v_ffbh_u32_e32 v7, v4
	v_min_u32_e32 v7, 32, v7
	v_sub_u32_e64 v7, v7, 4 clamp
	v_lshlrev_b32_e32 v9, v7, v4
	v_lshlrev_b32_e32 v7, 23, v7
	v_lshrrev_b32_e32 v9, 4, v9
	v_add_u32_e32 v8, 0x1000000, v4
	v_sub_u32_e32 v7, v9, v7
	v_ashrrev_i32_e32 v8, 8, v8
	v_add_u32_e32 v7, 0x3c000000, v7
	v_and_or_b32 v7, v8, s0, v7
	v_cmp_ne_u32_e32 vcc, 0, v4
	v_cndmask_b32_e32 v4, 0, v7, vcc
	s_brev_b32 s0, 1
	v_and_or_b32 v1, v1, s0, v4
.LBB21_658:
	s_mov_b64 s[0:1], 0
.LBB21_659:
	s_andn2_b64 vcc, exec, s[0:1]
	s_cbranch_vccnz .LBB21_661
; %bb.660:
	global_load_ubyte v1, v[2:3], off
	s_movk_i32 s0, 0x7f00
	s_brev_b32 s1, 16
	s_waitcnt vmcnt(0)
	v_lshlrev_b16_e32 v4, 8, v1
	v_lshlrev_b32_e32 v1, 25, v1
	v_lshrrev_b32_e32 v7, 4, v1
	v_and_or_b32 v8, v4, s0, 0.5
	v_or_b32_e32 v7, 0x70000000, v7
	v_add_f32_e32 v8, -0.5, v8
	v_mul_f32_e32 v7, 0x7800000, v7
	v_cmp_gt_u32_e32 vcc, s1, v1
	v_bfe_i32 v4, v4, 0, 16
	v_cndmask_b32_e32 v1, v7, v8, vcc
	s_brev_b32 s0, 1
	v_and_or_b32 v1, v4, s0, v1
.LBB21_661:
	s_mov_b64 s[2:3], 0
	s_mov_b64 s[0:1], -1
.LBB21_662:
	s_andn2_b64 vcc, exec, s[2:3]
	s_cbranch_vccnz .LBB21_675
; %bb.663:
	v_cmp_lt_i16_e32 vcc, 14, v5
	s_cbranch_vccz .LBB21_666
; %bb.664:
	v_cmp_eq_u16_e32 vcc, 15, v5
	s_cbranch_vccz .LBB21_669
; %bb.665:
	global_load_ushort v1, v[2:3], off
	s_mov_b64 s[0:1], -1
	s_mov_b64 s[8:9], 0
	s_waitcnt vmcnt(0)
	v_lshlrev_b32_e32 v1, 16, v1
	s_branch .LBB21_670
.LBB21_666:
	s_mov_b64 s[2:3], -1
                                        ; implicit-def: $vgpr1
	s_branch .LBB21_671
.LBB21_667:
	s_or_saveexec_b64 s[2:3], s[2:3]
	v_mov_b32_e32 v1, s10
	s_xor_b64 exec, exec, s[2:3]
	s_cbranch_execz .LBB21_648
.LBB21_668:
	v_cmp_ne_u16_e32 vcc, 0, v4
	s_andn2_b64 s[0:1], s[0:1], exec
	s_and_b64 s[6:7], vcc, exec
	v_mov_b32_e32 v1, 0
	s_or_b64 s[0:1], s[0:1], s[6:7]
	s_or_b64 exec, exec, s[2:3]
	s_and_saveexec_b64 s[2:3], s[0:1]
	s_cbranch_execnz .LBB21_649
	s_branch .LBB21_650
.LBB21_669:
	s_mov_b64 s[8:9], -1
                                        ; implicit-def: $vgpr1
.LBB21_670:
	s_mov_b64 s[2:3], 0
.LBB21_671:
	s_and_b64 vcc, exec, s[2:3]
	s_cbranch_vccz .LBB21_675
; %bb.672:
	v_cmp_eq_u16_e32 vcc, 11, v5
	s_cbranch_vccz .LBB21_674
; %bb.673:
	global_load_ubyte v1, v[2:3], off
	s_mov_b64 s[0:1], -1
	s_mov_b64 s[8:9], 0
	s_waitcnt vmcnt(0)
	v_cmp_ne_u16_e32 vcc, 0, v1
	v_cndmask_b32_e64 v1, 0, 1.0, vcc
	s_branch .LBB21_675
.LBB21_674:
	s_mov_b64 s[8:9], -1
                                        ; implicit-def: $vgpr1
.LBB21_675:
	s_mov_b64 s[2:3], 0
.LBB21_676:
	s_and_b64 vcc, exec, s[2:3]
	s_cbranch_vccz .LBB21_725
; %bb.677:
	v_cmp_gt_i16_e32 vcc, 5, v5
	s_cbranch_vccnz .LBB21_682
; %bb.678:
	v_cmp_gt_i16_e32 vcc, 8, v5
	s_cbranch_vccnz .LBB21_683
; %bb.679:
	v_cmp_gt_i16_e32 vcc, 9, v5
	s_cbranch_vccnz .LBB21_684
; %bb.680:
	v_cmp_lt_i16_e32 vcc, 9, v5
	s_cbranch_vccz .LBB21_685
; %bb.681:
	global_load_dwordx2 v[8:9], v[2:3], off
	s_mov_b64 s[0:1], 0
	s_waitcnt vmcnt(0)
	v_cvt_f32_f64_e32 v1, v[8:9]
	s_branch .LBB21_686
.LBB21_682:
	s_mov_b64 s[0:1], -1
                                        ; implicit-def: $vgpr1
	s_branch .LBB21_704
.LBB21_683:
	s_mov_b64 s[0:1], -1
                                        ; implicit-def: $vgpr1
	s_branch .LBB21_692
.LBB21_684:
	s_mov_b64 s[0:1], -1
                                        ; implicit-def: $vgpr1
	s_branch .LBB21_689
.LBB21_685:
	s_mov_b64 s[0:1], -1
                                        ; implicit-def: $vgpr1
.LBB21_686:
	s_andn2_b64 vcc, exec, s[0:1]
	s_cbranch_vccnz .LBB21_688
; %bb.687:
	global_load_dword v1, v[2:3], off
.LBB21_688:
	s_mov_b64 s[0:1], 0
.LBB21_689:
	s_andn2_b64 vcc, exec, s[0:1]
	s_cbranch_vccnz .LBB21_691
; %bb.690:
	global_load_dword v1, v[2:3], off
	s_waitcnt vmcnt(0)
	v_cvt_f32_f16_e32 v1, v1
.LBB21_691:
	s_mov_b64 s[0:1], 0
.LBB21_692:
	s_andn2_b64 vcc, exec, s[0:1]
	s_cbranch_vccnz .LBB21_703
; %bb.693:
	v_cmp_gt_i16_e32 vcc, 6, v5
	s_cbranch_vccnz .LBB21_696
; %bb.694:
	v_cmp_lt_i16_e32 vcc, 6, v5
	s_cbranch_vccz .LBB21_697
; %bb.695:
	global_load_dwordx2 v[8:9], v[2:3], off
	s_mov_b64 s[0:1], 0
	s_waitcnt vmcnt(0)
	v_cvt_f32_f64_e32 v1, v[8:9]
	s_branch .LBB21_698
.LBB21_696:
	s_mov_b64 s[0:1], -1
                                        ; implicit-def: $vgpr1
	s_branch .LBB21_701
.LBB21_697:
	s_mov_b64 s[0:1], -1
                                        ; implicit-def: $vgpr1
.LBB21_698:
	s_andn2_b64 vcc, exec, s[0:1]
	s_cbranch_vccnz .LBB21_700
; %bb.699:
	global_load_dword v1, v[2:3], off
.LBB21_700:
	s_mov_b64 s[0:1], 0
.LBB21_701:
	s_andn2_b64 vcc, exec, s[0:1]
	s_cbranch_vccnz .LBB21_703
; %bb.702:
	global_load_ushort v1, v[2:3], off
	s_waitcnt vmcnt(0)
	v_cvt_f32_f16_e32 v1, v1
.LBB21_703:
	s_mov_b64 s[0:1], 0
.LBB21_704:
	s_andn2_b64 vcc, exec, s[0:1]
	s_cbranch_vccnz .LBB21_724
; %bb.705:
	v_cmp_gt_i16_e32 vcc, 2, v5
	s_cbranch_vccnz .LBB21_709
; %bb.706:
	v_cmp_gt_i16_e32 vcc, 3, v5
	s_cbranch_vccnz .LBB21_710
; %bb.707:
	v_cmp_lt_i16_e32 vcc, 3, v5
	s_cbranch_vccz .LBB21_711
; %bb.708:
	global_load_dwordx2 v[8:9], v[2:3], off
	s_mov_b64 s[0:1], 0
	s_waitcnt vmcnt(0)
	v_xor_b32_e32 v4, v8, v9
	v_ffbh_i32_e32 v1, v9
	v_ashrrev_i32_e32 v4, 31, v4
	v_add_u32_e32 v1, -1, v1
	v_add_u32_e32 v4, 32, v4
	v_min_u32_e32 v1, v1, v4
	v_lshlrev_b64 v[8:9], v1, v[8:9]
	v_min_u32_e32 v4, 1, v8
	v_or_b32_e32 v4, v9, v4
	v_cvt_f32_i32_e32 v4, v4
	v_sub_u32_e32 v1, 32, v1
	v_ldexp_f32 v1, v4, v1
	s_branch .LBB21_712
.LBB21_709:
	s_mov_b64 s[0:1], -1
                                        ; implicit-def: $vgpr1
	s_branch .LBB21_718
.LBB21_710:
	s_mov_b64 s[0:1], -1
                                        ; implicit-def: $vgpr1
	s_branch .LBB21_715
.LBB21_711:
	s_mov_b64 s[0:1], -1
                                        ; implicit-def: $vgpr1
.LBB21_712:
	s_andn2_b64 vcc, exec, s[0:1]
	s_cbranch_vccnz .LBB21_714
; %bb.713:
	global_load_dword v1, v[2:3], off
	s_waitcnt vmcnt(0)
	v_cvt_f32_i32_e32 v1, v1
.LBB21_714:
	s_mov_b64 s[0:1], 0
.LBB21_715:
	s_andn2_b64 vcc, exec, s[0:1]
	s_cbranch_vccnz .LBB21_717
; %bb.716:
	global_load_sshort v1, v[2:3], off
	s_waitcnt vmcnt(0)
	v_cvt_f32_i32_e32 v1, v1
.LBB21_717:
	s_mov_b64 s[0:1], 0
.LBB21_718:
	s_andn2_b64 vcc, exec, s[0:1]
	s_cbranch_vccnz .LBB21_724
; %bb.719:
	v_cmp_lt_i16_e32 vcc, 0, v5
	s_cbranch_vccz .LBB21_721
; %bb.720:
	global_load_sbyte v1, v[2:3], off
	s_mov_b64 s[0:1], 0
	s_waitcnt vmcnt(0)
	v_cvt_f32_i32_e32 v1, v1
	s_branch .LBB21_722
.LBB21_721:
	s_mov_b64 s[0:1], -1
                                        ; implicit-def: $vgpr1
.LBB21_722:
	s_andn2_b64 vcc, exec, s[0:1]
	s_cbranch_vccnz .LBB21_724
; %bb.723:
	global_load_ubyte v1, v[2:3], off
	s_waitcnt vmcnt(0)
	v_cvt_f32_ubyte0_e32 v1, v1
.LBB21_724:
	s_mov_b64 s[0:1], -1
.LBB21_725:
	s_andn2_b64 vcc, exec, s[0:1]
	s_cbranch_vccnz .LBB21_735
; %bb.726:
	s_waitcnt vmcnt(0)
	v_cmp_gt_f32_e32 vcc, 0, v1
	v_cndmask_b32_e64 v1, v1, -v1, vcc
	s_mov_b32 s0, 0x40a00000
	v_cmp_ge_f32_e32 vcc, s0, v1
                                        ; implicit-def: $vgpr2
	s_and_saveexec_b64 s[0:1], vcc
	s_xor_b64 s[0:1], exec, s[0:1]
	s_cbranch_execz .LBB21_732
; %bb.727:
	s_mov_b32 s2, 0x3727c5ac
	v_cmp_ngt_f32_e32 vcc, s2, v1
	v_mul_f32_e32 v4, v1, v1
                                        ; implicit-def: $vgpr2
	s_and_saveexec_b64 s[2:3], vcc
	s_xor_b64 s[2:3], exec, s[2:3]
	s_cbranch_execz .LBB21_729
; %bb.728:
	v_mov_b32_e32 v1, 0x43f9c815
	v_fmac_f32_e32 v1, 0, v4
	v_mov_b32_e32 v3, 0x4829b65a
	v_fmac_f32_e32 v3, v4, v1
	v_mov_b32_e32 v1, 0x4c38c9a1
	v_fmac_f32_e32 v1, v4, v3
	v_mov_b32_e32 v3, 0x5026ad80
	v_fmac_f32_e32 v3, v4, v1
	s_mov_b32 s6, 0xcf8ee29d
	v_mul_f32_e32 v2, 0, v4
	v_mul_f32_e32 v3, v4, v3
	s_mov_b32 s7, 0x53f5f59c
	v_pk_add_f32 v[2:3], v[2:3], s[6:7]
	s_mov_b32 s6, 0x53e3ba8e
	s_mov_b32 s7, 0x578d3514
	v_pk_fma_f32 v[2:3], v[4:5], v[2:3], s[6:7] op_sel_hi:[0,1,1]
	s_mov_b32 s6, 0xd762b0a7
	s_mov_b32 s7, 0x5ae20a0c
	v_pk_fma_f32 v[2:3], v[4:5], v[2:3], s[6:7] op_sel_hi:[0,1,1]
	;; [unrolled: 3-line block ×3, first 2 shown]
	s_mov_b32 s6, 0xc0b90fdc
	s_mov_b32 s7, 0xc1f3c525
	v_pk_add_f32 v[8:9], v[4:5], s[6:7] op_sel_hi:[0,1]
	v_mul_f32_e32 v1, v8, v9
	v_mul_f32_e32 v1, v1, v2
	v_div_scale_f32 v2, s[6:7], v3, v3, v1
	v_rcp_f32_e32 v4, v2
	v_fma_f32 v7, -v2, v4, 1.0
	v_fmac_f32_e32 v4, v7, v4
	v_div_scale_f32 v7, vcc, v1, v3, v1
	v_mul_f32_e32 v8, v7, v4
	v_fma_f32 v9, -v2, v8, v7
	v_fmac_f32_e32 v8, v9, v4
	v_fma_f32 v2, -v2, v8, v7
	v_div_fmas_f32 v2, v2, v4, v8
	v_div_fixup_f32 v2, v2, v3, v1
                                        ; implicit-def: $vgpr4
.LBB21_729:
	s_andn2_saveexec_b64 s[2:3], s[2:3]
; %bb.730:
	s_mov_b32 s6, 0xbe800000
	v_fma_f32 v2, v4, s6, 1.0
; %bb.731:
	s_or_b64 exec, exec, s[2:3]
                                        ; implicit-def: $vgpr1
.LBB21_732:
	s_andn2_saveexec_b64 s[10:11], s[0:1]
	s_cbranch_execz .LBB21_743
; %bb.733:
	v_add_f32_e32 v2, 0xbf490fdb, v1
	s_brev_b32 s0, 18
	v_and_b32_e32 v3, 0x7fffffff, v2
	v_cmp_nlt_f32_e64 s[12:13], |v2|, s0
                                        ; implicit-def: $vgpr4
                                        ; implicit-def: $vgpr7
	s_and_saveexec_b64 s[0:1], s[12:13]
	s_xor_b64 s[14:15], exec, s[0:1]
	s_cbranch_execz .LBB21_736
; %bb.734:
	v_lshrrev_b32_e32 v4, 23, v3
	v_add_u32_e32 v4, 0xffffff88, v4
	v_not_b32_e32 v7, 63
	v_cmp_lt_u32_e32 vcc, 63, v4
	v_cndmask_b32_e32 v7, 0, v7, vcc
	v_add_u32_e32 v4, v7, v4
	v_not_b32_e32 v7, 31
	v_cmp_lt_u32_e64 s[0:1], 31, v4
	v_cndmask_b32_e64 v8, 0, v7, s[0:1]
	v_add_u32_e32 v4, v8, v4
	v_cmp_lt_u32_e64 s[2:3], 31, v4
	v_cndmask_b32_e64 v7, 0, v7, s[2:3]
	v_add_u32_e32 v4, v7, v4
	v_and_b32_e32 v7, 0x7fffff, v3
	v_or_b32_e32 v7, 0x800000, v7
	s_mov_b32 s6, 0xfe5163ab
	v_mad_u64_u32 v[10:11], s[6:7], v7, s6, 0
	v_mov_b32_e32 v9, 0
	v_mov_b32_e32 v8, v11
	s_mov_b32 s6, 0x3c439041
	v_mad_u64_u32 v[14:15], s[6:7], v7, s6, v[8:9]
	v_mov_b32_e32 v8, v15
	s_mov_b32 s6, 0xdb629599
	v_mad_u64_u32 v[16:17], s[6:7], v7, s6, v[8:9]
	;; [unrolled: 3-line block ×6, first 2 shown]
	v_cndmask_b32_e32 v11, v22, v18, vcc
	v_cndmask_b32_e32 v7, v8, v20, vcc
	;; [unrolled: 1-line block ×3, first 2 shown]
	v_cndmask_b32_e64 v8, v7, v11, s[0:1]
	v_cndmask_b32_e64 v7, v9, v7, s[0:1]
	v_cndmask_b32_e32 v9, v20, v16, vcc
	v_cndmask_b32_e64 v11, v11, v9, s[0:1]
	v_cndmask_b32_e64 v7, v7, v8, s[2:3]
	v_cndmask_b32_e64 v8, v8, v11, s[2:3]
	v_sub_u32_e32 v12, 32, v4
	v_alignbit_b32 v15, v7, v8, v12
	v_cmp_eq_u32_e64 s[6:7], 0, v4
	v_cndmask_b32_e64 v4, v15, v7, s[6:7]
	v_cndmask_b32_e32 v7, v18, v14, vcc
	v_cndmask_b32_e64 v9, v9, v7, s[0:1]
	v_cndmask_b32_e64 v11, v11, v9, s[2:3]
	v_alignbit_b32 v14, v8, v11, v12
	v_cndmask_b32_e64 v8, v14, v8, s[6:7]
	v_bfe_u32 v17, v4, 29, 1
	v_cndmask_b32_e32 v10, v16, v10, vcc
	v_alignbit_b32 v14, v4, v8, 30
	v_sub_u32_e32 v18, 0, v17
	v_cndmask_b32_e64 v7, v7, v10, s[0:1]
	v_xor_b32_e32 v19, v14, v18
	v_cndmask_b32_e64 v7, v9, v7, s[2:3]
	v_alignbit_b32 v9, v11, v7, v12
	v_ffbh_u32_e32 v10, v19
	v_cndmask_b32_e64 v9, v9, v11, s[6:7]
	v_add_u32_e32 v10, 1, v10
	v_cmp_ne_u32_e32 vcc, v14, v18
	v_alignbit_b32 v8, v8, v9, 30
	v_cndmask_b32_e32 v10, 33, v10, vcc
	v_alignbit_b32 v7, v9, v7, 30
	v_xor_b32_e32 v8, v8, v18
	v_sub_u32_e32 v11, 32, v10
	v_xor_b32_e32 v7, v7, v18
	v_alignbit_b32 v12, v19, v8, v11
	v_alignbit_b32 v7, v8, v7, v11
	;; [unrolled: 1-line block ×3, first 2 shown]
	v_ffbh_u32_e32 v9, v8
	v_min_u32_e32 v9, 32, v9
	v_lshrrev_b32_e32 v15, 29, v4
	v_sub_u32_e32 v11, 31, v9
	v_alignbit_b32 v7, v8, v7, v11
	v_lshlrev_b32_e32 v8, 31, v15
	v_or_b32_e32 v11, 0x33800000, v8
	v_add_lshl_u32 v9, v9, v10, 23
	v_lshrrev_b32_e32 v7, 9, v7
	v_sub_u32_e32 v9, v11, v9
	v_or_b32_e32 v7, v9, v7
	v_alignbit_b32 v9, v10, v12, 9
	v_or_b32_e32 v8, v9, v8
	v_xor_b32_e32 v8, 1.0, v8
	s_mov_b32 s0, 0x3fc90fda
	v_mul_f32_e32 v9, 0x3fc90fda, v8
	v_fma_f32 v10, v8, s0, -v9
	v_fmac_f32_e32 v10, 0x33a22168, v8
	v_fmac_f32_e32 v10, 0x3fc90fda, v7
	v_lshrrev_b32_e32 v4, 30, v4
	v_add_f32_e32 v7, v9, v10
	v_add_u32_e32 v4, v17, v4
	s_andn2_saveexec_b64 s[0:1], s[14:15]
	s_branch .LBB21_737
.LBB21_735:
	s_mov_b64 s[2:3], 0
	s_mov_b64 s[0:1], s[62:63]
	s_branch .LBB21_866
.LBB21_736:
	s_andn2_saveexec_b64 s[0:1], s[14:15]
.LBB21_737:
	s_mov_b32 s2, 0x3f22f983
	v_mul_f32_e64 v4, |v2|, s2
	v_rndne_f32_e32 v8, v4
	s_mov_b32 s2, 0xbfc90fda
	v_cvt_i32_f32_e32 v4, v8
	v_fma_f32 v7, v8, s2, |v2|
	v_fmac_f32_e32 v7, 0xb3a22168, v8
	v_fmac_f32_e32 v7, 0xa7c234c4, v8
; %bb.738:
	s_or_b64 exec, exec, s[0:1]
                                        ; implicit-def: $vgpr8
                                        ; implicit-def: $vgpr9
	s_and_saveexec_b64 s[0:1], s[12:13]
	s_xor_b64 s[12:13], exec, s[0:1]
	s_cbranch_execz .LBB21_740
; %bb.739:
	v_lshrrev_b32_e32 v8, 23, v3
	v_add_u32_e32 v8, 0xffffff88, v8
	v_not_b32_e32 v10, 63
	v_cmp_lt_u32_e32 vcc, 63, v8
	v_cndmask_b32_e32 v10, 0, v10, vcc
	v_add_u32_e32 v8, v10, v8
	v_not_b32_e32 v10, 31
	v_cmp_lt_u32_e64 s[0:1], 31, v8
	v_cndmask_b32_e64 v11, 0, v10, s[0:1]
	v_add_u32_e32 v8, v11, v8
	v_cmp_lt_u32_e64 s[2:3], 31, v8
	v_cndmask_b32_e64 v10, 0, v10, s[2:3]
	v_add_u32_e32 v12, v10, v8
	v_and_b32_e32 v8, 0x7fffff, v3
	v_or_b32_e32 v24, 0x800000, v8
	s_mov_b32 s6, 0xfe5163ab
	v_mad_u64_u32 v[10:11], s[6:7], v24, s6, 0
	v_mov_b32_e32 v9, 0
	v_mov_b32_e32 v8, v11
	s_mov_b32 s6, 0x3c439041
	v_mad_u64_u32 v[14:15], s[6:7], v24, s6, v[8:9]
	v_mov_b32_e32 v8, v15
	s_mov_b32 s6, 0xdb629599
	v_mad_u64_u32 v[16:17], s[6:7], v24, s6, v[8:9]
	;; [unrolled: 3-line block ×6, first 2 shown]
	v_cndmask_b32_e32 v11, v22, v18, vcc
	v_cndmask_b32_e32 v8, v8, v20, vcc
	v_cndmask_b32_e32 v9, v9, v22, vcc
	v_cndmask_b32_e64 v15, v8, v11, s[0:1]
	v_cndmask_b32_e64 v8, v9, v8, s[0:1]
	v_cndmask_b32_e32 v9, v20, v16, vcc
	v_cndmask_b32_e64 v11, v11, v9, s[0:1]
	v_sub_u32_e32 v17, 32, v12
	v_cmp_eq_u32_e64 s[6:7], 0, v12
	v_cndmask_b32_e32 v12, v18, v14, vcc
	v_cndmask_b32_e64 v8, v8, v15, s[2:3]
	v_cndmask_b32_e64 v15, v15, v11, s[2:3]
	;; [unrolled: 1-line block ×3, first 2 shown]
	v_alignbit_b32 v19, v8, v15, v17
	v_cndmask_b32_e64 v11, v11, v9, s[2:3]
	v_cndmask_b32_e64 v8, v19, v8, s[6:7]
	v_alignbit_b32 v14, v15, v11, v17
	v_cndmask_b32_e64 v14, v14, v15, s[6:7]
	v_bfe_u32 v19, v8, 29, 1
	v_cndmask_b32_e32 v10, v16, v10, vcc
	v_alignbit_b32 v15, v8, v14, 30
	v_sub_u32_e32 v20, 0, v19
	v_cndmask_b32_e64 v10, v12, v10, s[0:1]
	v_xor_b32_e32 v21, v15, v20
	v_cndmask_b32_e64 v9, v9, v10, s[2:3]
	v_alignbit_b32 v10, v11, v9, v17
	v_ffbh_u32_e32 v12, v21
	v_cndmask_b32_e64 v10, v10, v11, s[6:7]
	v_add_u32_e32 v12, 1, v12
	v_cmp_ne_u32_e32 vcc, v15, v20
	v_alignbit_b32 v11, v14, v10, 30
	v_cndmask_b32_e32 v12, 33, v12, vcc
	v_alignbit_b32 v9, v10, v9, 30
	v_xor_b32_e32 v11, v11, v20
	v_sub_u32_e32 v14, 32, v12
	v_xor_b32_e32 v9, v9, v20
	v_alignbit_b32 v15, v21, v11, v14
	v_alignbit_b32 v9, v11, v9, v14
	;; [unrolled: 1-line block ×3, first 2 shown]
	v_ffbh_u32_e32 v11, v10
	v_min_u32_e32 v11, 32, v11
	v_lshrrev_b32_e32 v18, 29, v8
	v_sub_u32_e32 v14, 31, v11
	v_alignbit_b32 v9, v10, v9, v14
	v_lshlrev_b32_e32 v10, 31, v18
	v_or_b32_e32 v14, 0x33800000, v10
	v_add_lshl_u32 v11, v11, v12, 23
	v_lshrrev_b32_e32 v9, 9, v9
	v_sub_u32_e32 v11, v14, v11
	v_or_b32_e32 v9, v11, v9
	v_alignbit_b32 v11, v12, v15, 9
	v_or_b32_e32 v10, v11, v10
	v_xor_b32_e32 v10, 1.0, v10
	s_mov_b32 s0, 0x3fc90fda
	v_mul_f32_e32 v11, 0x3fc90fda, v10
	v_fma_f32 v12, v10, s0, -v11
	v_fmac_f32_e32 v12, 0x33a22168, v10
	v_fmac_f32_e32 v12, 0x3fc90fda, v9
	v_lshrrev_b32_e32 v8, 30, v8
	v_add_f32_e32 v9, v11, v12
	v_add_u32_e32 v8, v19, v8
	s_andn2_saveexec_b64 s[0:1], s[12:13]
	s_cbranch_execnz .LBB21_741
	s_branch .LBB21_742
.LBB21_740:
	s_andn2_saveexec_b64 s[0:1], s[12:13]
.LBB21_741:
	s_mov_b32 s2, 0x3f22f983
	v_mul_f32_e64 v8, |v2|, s2
	v_rndne_f32_e32 v10, v8
	s_mov_b32 s2, 0xbfc90fda
	v_cvt_i32_f32_e32 v8, v10
	v_fma_f32 v9, v10, s2, |v2|
	v_fmac_f32_e32 v9, 0xb3a22168, v10
	v_fmac_f32_e32 v9, 0xa7c234c4, v10
.LBB21_742:
	s_or_b64 exec, exec, s[0:1]
	v_mul_f32_e32 v10, v1, v1
	s_mov_b32 s2, 0x41c80000
	v_div_scale_f32 v11, s[0:1], v10, v10, s2
	v_rcp_f32_e32 v12, v11
	v_mov_b32_e32 v20, 0xbf000004
	s_mov_b32 s6, 0xc0a00000
	v_fma_f32 v14, -v11, v12, 1.0
	v_fmac_f32_e32 v12, v14, v12
	v_div_scale_f32 v14, vcc, s2, v10, s2
	v_mul_f32_e32 v15, v14, v12
	v_fma_f32 v16, -v11, v15, v14
	v_fmac_f32_e32 v15, v16, v12
	v_fma_f32 v11, -v11, v15, v14
	v_div_fmas_f32 v11, v11, v12, v15
	v_div_fixup_f32 v10, v11, v10, s2
	v_mov_b32_e32 v11, 0x3a50e985
	v_fmac_f32_e32 v11, 0, v10
	v_mov_b32_e32 v12, 0x3da9a586
	v_fmac_f32_e32 v12, v10, v11
	v_mov_b32_e32 v11, 0x3f9ea90a
	v_fmac_f32_e32 v11, v10, v12
	v_mov_b32_e32 v12, 0x40ae4fdf
	v_fmac_f32_e32 v12, v10, v11
	v_mov_b32_e32 v11, 0x410bf463
	v_fmac_f32_e32 v11, v10, v12
	v_mov_b32_e32 v12, 0x40a9b425
	v_fmac_f32_e32 v12, v10, v11
	v_mov_b32_e32 v11, 0x3a725406
	v_fmac_f32_e32 v11, 0, v10
	v_mov_b32_e32 v14, 0x3daf5e2d
	v_fmac_f32_e32 v14, v10, v11
	v_mov_b32_e32 v11, 0x3fa07396
	v_fmac_f32_e32 v11, v10, v14
	v_mov_b32_e32 v14, 0x40af123f
	v_fmac_f32_e32 v14, v10, v11
	v_mov_b32_e32 v11, 0x410c30c7
	v_fmac_f32_e32 v11, v10, v14
	v_mov_b32_e32 v14, 0x40a9cb2f
	v_fmac_f32_e32 v14, v10, v11
	v_fma_f32 v11, v10, v14, 1.0
	v_mov_b32_e32 v14, 0xbc3a3a12
	v_fmac_f32_e32 v14, 0, v10
	v_mov_b32_e32 v15, 0xbfa429da
	v_fmac_f32_e32 v15, v10, v14
	;; [unrolled: 2-line block ×9, first 2 shown]
	v_mov_b32_e32 v16, 0x44561b86
	v_fma_f32 v12, v10, v12, 1.0
	v_fmac_f32_e32 v16, v10, v14
	v_mov_b32_e32 v14, 0x4572a66e
	v_div_scale_f32 v17, s[0:1], v11, v11, v12
	v_fmac_f32_e32 v14, v10, v16
	v_mov_b32_e32 v16, 0x45e243be
	v_rcp_f32_e32 v18, v17
	v_fmac_f32_e32 v16, v10, v14
	v_mov_b32_e32 v14, 0x45b955d1
	v_fmac_f32_e32 v14, v10, v16
	v_mov_b32_e32 v16, 0x4500e17e
	;; [unrolled: 2-line block ×3, first 2 shown]
	v_fmac_f32_e32 v14, v10, v16
	v_fma_f32 v10, -v17, v18, 1.0
	v_fmac_f32_e32 v18, v10, v18
	v_div_scale_f32 v10, vcc, v12, v11, v12
	v_mul_f32_e32 v16, v10, v18
	v_fma_f32 v19, -v17, v16, v10
	v_fmac_f32_e32 v16, v19, v18
	v_fma_f32 v10, -v17, v16, v10
	v_div_fmas_f32 v10, v10, v18, v16
	v_div_fixup_f32 v10, v10, v11, v12
	v_mul_f32_e32 v11, v7, v7
	v_mov_b32_e32 v18, 0xbab64f3b
	v_mov_b32_e32 v16, 0x3c0881c4
	v_fmac_f32_e32 v18, 0x37d75334, v11
	v_mov_b32_e32 v19, 0x3d2aabf7
	v_fmac_f32_e32 v16, 0xb94c1982, v11
	v_mov_b32_e32 v17, 0xbe2aaa9d
	v_fma_f32 v18, v11, v18, v19
	v_fma_f32 v16, v11, v16, v17
	;; [unrolled: 1-line block ×3, first 2 shown]
	v_mul_f32_e32 v16, v11, v16
	v_fma_f32 v11, v11, v18, 1.0
	v_and_b32_e32 v18, 1, v4
	v_fmac_f32_e32 v7, v7, v16
	v_cmp_eq_u32_e32 vcc, 0, v18
	v_lshlrev_b32_e32 v4, 30, v4
	v_cndmask_b32_e64 v7, -v7, v11, vcc
	v_and_b32_e32 v4, 0x80000000, v4
	v_xor_b32_e32 v4, v4, v7
	v_div_scale_f32 v7, s[0:1], v1, v1, s6
	v_rcp_f32_e32 v11, v7
	s_movk_i32 s2, 0x1f8
	v_cmp_class_f32_e64 s[0:1], v2, s2
	v_mov_b32_e32 v12, 0x3c0881c4
	v_fma_f32 v21, -v7, v11, 1.0
	v_fmac_f32_e32 v11, v21, v11
	v_div_scale_f32 v21, vcc, s6, v1, s6
	v_mul_f32_e32 v22, v21, v11
	v_fma_f32 v23, -v7, v22, v21
	v_fmac_f32_e32 v22, v23, v11
	v_fma_f32 v7, -v7, v22, v21
	v_div_scale_f32 v21, s[2:3], v14, v14, v15
	v_rcp_f32_e32 v23, v21
	v_div_fmas_f32 v7, v7, v11, v22
	v_div_fixup_f32 v7, v7, v1, s6
	v_mov_b32_e32 v16, 0xbab64f3b
	v_fma_f32 v11, -v21, v23, 1.0
	v_fmac_f32_e32 v23, v11, v23
	v_div_scale_f32 v11, vcc, v15, v14, v15
	v_mul_f32_e32 v22, v11, v23
	v_fma_f32 v24, -v21, v22, v11
	v_fmac_f32_e32 v22, v24, v23
	v_fma_f32 v11, -v21, v22, v11
	v_div_fmas_f32 v11, v11, v23, v22
	v_div_fixup_f32 v11, v11, v14, v15
	v_mul_f32_e32 v7, v7, v11
	v_mul_f32_e32 v11, v9, v9
	v_fmac_f32_e32 v12, 0xb94c1982, v11
	v_fmac_f32_e32 v17, v11, v12
	;; [unrolled: 1-line block ×3, first 2 shown]
	v_mul_f32_e32 v12, v11, v17
	v_fmac_f32_e32 v19, v11, v16
	v_fmac_f32_e32 v9, v9, v12
	;; [unrolled: 1-line block ×3, first 2 shown]
	v_and_b32_e32 v12, 1, v8
	v_lshlrev_b32_e32 v8, 30, v8
	v_fma_f32 v11, v11, v20, 1.0
	v_cmp_eq_u32_e32 vcc, 0, v12
	v_and_b32_e32 v8, 0x80000000, v8
	v_xor_b32_e32 v2, v3, v2
	v_cndmask_b32_e32 v9, v11, v9, vcc
	v_xor_b32_e32 v2, v2, v8
	v_mov_b32_e32 v18, 0x7fc00000
	v_xor_b32_e32 v2, v2, v9
	v_cndmask_b32_e64 v4, v18, v4, s[0:1]
	v_cndmask_b32_e64 v2, v18, v2, s[0:1]
	s_mov_b32 s0, 0xf800000
	v_mul_f32_e32 v3, 0x4f800000, v1
	v_cmp_gt_f32_e32 vcc, s0, v1
	v_cndmask_b32_e32 v1, v1, v3, vcc
	v_sqrt_f32_e32 v3, v1
	v_mul_f32_e32 v2, v7, v2
	v_fmac_f32_e32 v2, v10, v4
	v_mul_f32_e32 v2, 0x3f4c422a, v2
	v_add_u32_e32 v4, -1, v3
	v_fma_f32 v7, -v4, v3, v1
	v_cmp_ge_f32_e64 s[0:1], 0, v7
	v_add_u32_e32 v7, 1, v3
	v_cndmask_b32_e64 v4, v3, v4, s[0:1]
	v_fma_f32 v3, -v7, v3, v1
	v_cmp_lt_f32_e64 s[0:1], 0, v3
	v_cndmask_b32_e64 v3, v4, v7, s[0:1]
	v_mul_f32_e32 v4, 0x37800000, v3
	v_cndmask_b32_e32 v3, v3, v4, vcc
	v_mov_b32_e32 v4, 0x260
	v_cmp_class_f32_e32 vcc, v1, v4
	v_cndmask_b32_e32 v1, v3, v1, vcc
	v_div_scale_f32 v3, s[0:1], v1, v1, v2
	v_rcp_f32_e32 v4, v3
	v_fma_f32 v7, -v3, v4, 1.0
	v_fmac_f32_e32 v4, v7, v4
	v_div_scale_f32 v7, vcc, v2, v1, v2
	v_mul_f32_e32 v8, v7, v4
	v_fma_f32 v9, -v3, v8, v7
	v_fmac_f32_e32 v8, v9, v4
	v_fma_f32 v3, -v3, v8, v7
	v_div_fmas_f32 v3, v3, v4, v8
	v_div_fixup_f32 v2, v3, v1, v2
.LBB21_743:
	s_or_b64 exec, exec, s[10:11]
	v_mov_b32_e32 v1, s25
	v_add_co_u32_e32 v0, vcc, s24, v0
	v_mov_b32_e32 v3, 11
	v_addc_co_u32_e32 v1, vcc, 0, v1, vcc
	v_cmp_lt_i16_sdwa s[0:1], v6, v3 src0_sel:BYTE_0 src1_sel:DWORD
	s_and_b64 vcc, exec, s[0:1]
	s_cbranch_vccnz .LBB21_750
; %bb.744:
	v_mov_b32_e32 v3, 25
	v_cmp_gt_i16_sdwa s[0:1], v6, v3 src0_sel:BYTE_0 src1_sel:DWORD
	s_and_b64 vcc, exec, s[0:1]
	s_cbranch_vccz .LBB21_751
; %bb.745:
	v_mov_b32_e32 v3, 28
	v_cmp_gt_i16_sdwa s[0:1], v6, v3 src0_sel:BYTE_0 src1_sel:DWORD
	s_and_b64 vcc, exec, s[0:1]
	s_cbranch_vccz .LBB21_752
	;; [unrolled: 5-line block ×4, first 2 shown]
; %bb.748:
	v_mov_b32_e32 v3, 46
	v_cmp_eq_u16_sdwa s[2:3], v6, v3 src0_sel:BYTE_0 src1_sel:DWORD
	s_mov_b64 s[6:7], 0
	s_mov_b64 s[0:1], -1
	s_and_b64 vcc, exec, s[2:3]
	s_mov_b64 s[2:3], 0
	s_cbranch_vccz .LBB21_755
; %bb.749:
	v_bfe_u32 v3, v2, 16, 1
	s_movk_i32 s0, 0x7fff
	v_add3_u32 v3, v2, v3, s0
	v_lshrrev_b32_e32 v3, 16, v3
	v_mov_b32_e32 v4, 0x7fc0
	v_cmp_o_f32_e32 vcc, v2, v2
	v_cndmask_b32_e32 v3, v4, v3, vcc
	global_store_dword v[0:1], v3, off
	s_mov_b64 s[2:3], -1
	s_mov_b64 s[0:1], 0
	s_branch .LBB21_755
.LBB21_750:
	s_mov_b64 s[6:7], -1
	s_mov_b64 s[2:3], 0
	s_mov_b64 s[0:1], s[62:63]
	s_branch .LBB21_824
.LBB21_751:
	s_mov_b64 s[6:7], -1
	s_mov_b64 s[2:3], 0
	s_mov_b64 s[0:1], s[62:63]
	s_branch .LBB21_782
.LBB21_752:
	s_mov_b64 s[6:7], -1
	s_mov_b64 s[2:3], 0
	s_mov_b64 s[0:1], s[62:63]
	s_branch .LBB21_765
.LBB21_753:
	s_mov_b64 s[6:7], -1
	s_mov_b64 s[2:3], 0
	s_mov_b64 s[0:1], s[62:63]
	s_branch .LBB21_761
.LBB21_754:
	s_mov_b64 s[6:7], -1
	s_mov_b64 s[2:3], 0
	s_mov_b64 s[0:1], s[62:63]
.LBB21_755:
	s_and_b64 vcc, exec, s[6:7]
	s_cbranch_vccz .LBB21_760
; %bb.756:
	v_mov_b32_e32 v3, 44
	v_cmp_eq_u16_sdwa s[6:7], v6, v3 src0_sel:BYTE_0 src1_sel:DWORD
	s_mov_b64 s[0:1], -1
	s_and_b64 vcc, exec, s[6:7]
	s_cbranch_vccz .LBB21_760
; %bb.757:
	v_bfe_u32 v3, v2, 23, 8
	s_movk_i32 s0, 0xff
	v_cmp_ne_u32_e32 vcc, s0, v3
	v_mov_b32_e32 v4, 0xff
	s_and_saveexec_b64 s[2:3], vcc
; %bb.758:
	s_mov_b32 s0, 0x3fffff
	v_and_b32_e32 v7, 0x400000, v2
	v_and_or_b32 v3, v2, s0, v3
	v_cmp_ne_u32_e32 vcc, 0, v7
	v_cmp_ne_u32_e64 s[0:1], 0, v3
	s_and_b64 s[0:1], vcc, s[0:1]
	v_lshrrev_b32_e32 v4, 23, v2
	v_cndmask_b32_e64 v3, 0, 1, s[0:1]
	v_add_u32_e32 v4, v4, v3
; %bb.759:
	s_or_b64 exec, exec, s[2:3]
	s_mov_b64 s[2:3], -1
	s_mov_b64 s[0:1], 0
	global_store_byte v[0:1], v4, off
.LBB21_760:
	s_mov_b64 s[6:7], 0
.LBB21_761:
	s_and_b64 vcc, exec, s[6:7]
	s_cbranch_vccz .LBB21_764
; %bb.762:
	v_mov_b32_e32 v3, 29
	v_cmp_eq_u16_sdwa s[6:7], v6, v3 src0_sel:BYTE_0 src1_sel:DWORD
	s_mov_b64 s[0:1], -1
	s_and_b64 vcc, exec, s[6:7]
	s_cbranch_vccz .LBB21_764
; %bb.763:
	v_trunc_f32_e32 v3, v2
	v_mul_f32_e32 v4, 0x2f800000, v3
	v_floor_f32_e32 v4, v4
	v_fmac_f32_e32 v3, 0xcf800000, v4
	v_cvt_u32_f32_e32 v9, v4
	v_cvt_u32_f32_e32 v8, v3
	s_mov_b64 s[2:3], -1
	s_mov_b64 s[0:1], 0
	s_mov_b64 s[6:7], 0
	global_store_dwordx2 v[0:1], v[8:9], off
	s_branch .LBB21_765
.LBB21_764:
	s_mov_b64 s[6:7], 0
.LBB21_765:
	s_and_b64 vcc, exec, s[6:7]
	s_cbranch_vccz .LBB21_781
; %bb.766:
	v_mov_b32_e32 v3, 27
	v_cmp_lt_i16_sdwa s[6:7], v6, v3 src0_sel:BYTE_0 src1_sel:DWORD
	s_mov_b64 s[2:3], -1
	s_and_b64 vcc, exec, s[6:7]
	s_cbranch_vccnz .LBB21_772
; %bb.767:
	v_cmp_gt_i16_sdwa s[6:7], v6, v3 src0_sel:BYTE_0 src1_sel:DWORD
	v_cvt_u32_f32_e32 v3, v2
	s_and_b64 vcc, exec, s[6:7]
	s_cbranch_vccz .LBB21_769
; %bb.768:
	s_mov_b64 s[2:3], 0
	global_store_dword v[0:1], v3, off
.LBB21_769:
	s_andn2_b64 vcc, exec, s[2:3]
	s_cbranch_vccnz .LBB21_771
; %bb.770:
	global_store_short v[0:1], v3, off
.LBB21_771:
	s_mov_b64 s[2:3], 0
.LBB21_772:
	s_andn2_b64 vcc, exec, s[2:3]
	s_cbranch_vccnz .LBB21_780
; %bb.773:
	v_and_b32_e32 v3, 0x7fffffff, v2
	s_mov_b32 s2, 0x43800000
	v_cmp_gt_u32_e32 vcc, s2, v3
	v_mov_b32_e32 v4, 0x80
	s_and_saveexec_b64 s[2:3], vcc
	s_cbranch_execz .LBB21_779
; %bb.774:
	s_mov_b32 s6, 0x3bffffff
	v_cmp_lt_u32_e32 vcc, s6, v3
	s_mov_b64 s[6:7], 0
                                        ; implicit-def: $vgpr3
	s_and_saveexec_b64 s[10:11], vcc
	s_xor_b64 s[10:11], exec, s[10:11]
	s_cbranch_execz .LBB21_897
; %bb.775:
	v_bfe_u32 v3, v2, 20, 1
	s_mov_b32 s12, 0x487ffff
	v_add3_u32 v3, v2, v3, s12
	s_mov_b64 s[6:7], exec
	v_lshrrev_b32_e32 v3, 20, v3
	s_or_saveexec_b64 s[10:11], s[10:11]
                                        ; implicit-def: $sgpr12
	s_xor_b64 exec, exec, s[10:11]
	s_cbranch_execnz .LBB21_898
.LBB21_776:
	s_or_b64 exec, exec, s[10:11]
	v_mov_b32_e32 v4, s12
	s_and_saveexec_b64 s[10:11], s[6:7]
.LBB21_777:
	v_lshrrev_b32_e32 v4, 24, v2
	s_movk_i32 s6, 0x80
	v_and_or_b32 v4, v4, s6, v3
.LBB21_778:
	s_or_b64 exec, exec, s[10:11]
.LBB21_779:
	s_or_b64 exec, exec, s[2:3]
	global_store_byte v[0:1], v4, off
.LBB21_780:
	s_mov_b64 s[2:3], -1
.LBB21_781:
	s_mov_b64 s[6:7], 0
.LBB21_782:
	s_and_b64 vcc, exec, s[6:7]
	s_cbranch_vccz .LBB21_823
; %bb.783:
	v_mov_b32_e32 v3, 22
	v_cmp_gt_i16_sdwa s[10:11], v6, v3 src0_sel:BYTE_0 src1_sel:DWORD
	s_mov_b64 s[6:7], -1
	s_and_b64 vcc, exec, s[10:11]
	s_cbranch_vccz .LBB21_815
; %bb.784:
	v_mov_b32_e32 v3, 24
	v_cmp_lt_i16_sdwa s[6:7], v6, v3 src0_sel:BYTE_0 src1_sel:DWORD
	s_mov_b64 s[2:3], -1
	s_and_b64 vcc, exec, s[6:7]
	s_cbranch_vccnz .LBB21_804
; %bb.785:
	v_cmp_gt_i16_sdwa s[6:7], v6, v3 src0_sel:BYTE_0 src1_sel:DWORD
	s_and_b64 vcc, exec, s[6:7]
	s_cbranch_vccz .LBB21_793
; %bb.786:
	v_and_b32_e32 v3, 0x7fffffff, v2
	s_mov_b32 s2, 0x47800000
	v_cmp_gt_u32_e32 vcc, s2, v3
	v_mov_b32_e32 v4, 0x80
	s_and_saveexec_b64 s[2:3], vcc
	s_cbranch_execz .LBB21_792
; %bb.787:
	s_mov_b32 s6, 0x37ffffff
	v_cmp_lt_u32_e32 vcc, s6, v3
	s_mov_b64 s[6:7], 0
                                        ; implicit-def: $vgpr3
	s_and_saveexec_b64 s[10:11], vcc
	s_xor_b64 s[10:11], exec, s[10:11]
	s_cbranch_execz .LBB21_900
; %bb.788:
	v_bfe_u32 v3, v2, 21, 1
	s_mov_b32 s12, 0x88fffff
	v_add3_u32 v3, v2, v3, s12
	s_mov_b64 s[6:7], exec
	v_lshrrev_b32_e32 v3, 21, v3
	s_or_saveexec_b64 s[10:11], s[10:11]
                                        ; implicit-def: $sgpr12
	s_xor_b64 exec, exec, s[10:11]
	s_cbranch_execnz .LBB21_901
.LBB21_789:
	s_or_b64 exec, exec, s[10:11]
	v_mov_b32_e32 v4, s12
	s_and_saveexec_b64 s[10:11], s[6:7]
.LBB21_790:
	v_lshrrev_b32_e32 v4, 24, v2
	s_movk_i32 s6, 0x80
	v_and_or_b32 v4, v4, s6, v3
.LBB21_791:
	s_or_b64 exec, exec, s[10:11]
.LBB21_792:
	s_or_b64 exec, exec, s[2:3]
	s_mov_b64 s[2:3], 0
	global_store_byte v[0:1], v4, off
.LBB21_793:
	s_and_b64 vcc, exec, s[2:3]
	s_cbranch_vccz .LBB21_803
; %bb.794:
	v_and_b32_e32 v4, 0x7fffffff, v2
	s_mov_b32 s2, 0x43f00000
	v_cmp_gt_u32_e32 vcc, s2, v4
                                        ; implicit-def: $vgpr3
	s_and_saveexec_b64 s[2:3], vcc
	s_xor_b64 s[2:3], exec, s[2:3]
	s_cbranch_execz .LBB21_800
; %bb.795:
	s_mov_b32 s6, 0x3c7fffff
	v_cmp_lt_u32_e32 vcc, s6, v4
                                        ; implicit-def: $vgpr3
	s_and_saveexec_b64 s[6:7], vcc
	s_xor_b64 s[6:7], exec, s[6:7]
; %bb.796:
	v_bfe_u32 v3, v2, 20, 1
	s_mov_b32 s10, 0x407ffff
	v_add3_u32 v3, v2, v3, s10
	v_lshrrev_b32_e32 v4, 20, v3
	v_and_b32_e32 v3, 0xff00000, v3
	s_mov_b32 s10, 0x7f00000
	v_mov_b32_e32 v7, 0x7e
	v_cmp_ne_u32_e32 vcc, s10, v3
	v_cndmask_b32_e32 v3, v7, v4, vcc
; %bb.797:
	s_andn2_saveexec_b64 s[6:7], s[6:7]
; %bb.798:
	s_mov_b32 s10, 0x46800000
	v_add_f32_e64 v3, |v2|, s10
; %bb.799:
	s_or_b64 exec, exec, s[6:7]
                                        ; implicit-def: $vgpr4
.LBB21_800:
	s_andn2_saveexec_b64 s[2:3], s[2:3]
; %bb.801:
	s_mov_b32 s6, 0x7f800000
	v_mov_b32_e32 v3, 0x7e
	v_mov_b32_e32 v7, 0x7f
	v_cmp_lt_u32_e32 vcc, s6, v4
	v_cndmask_b32_e32 v3, v3, v7, vcc
; %bb.802:
	s_or_b64 exec, exec, s[2:3]
	v_lshrrev_b32_e32 v4, 24, v2
	s_movk_i32 s2, 0x80
	v_and_or_b32 v3, v4, s2, v3
	global_store_byte v[0:1], v3, off
.LBB21_803:
	s_mov_b64 s[2:3], 0
.LBB21_804:
	s_andn2_b64 vcc, exec, s[2:3]
	s_cbranch_vccnz .LBB21_814
; %bb.805:
	v_and_b32_e32 v4, 0x7fffffff, v2
	s_mov_b32 s2, 0x47800000
	v_cmp_gt_u32_e32 vcc, s2, v4
                                        ; implicit-def: $vgpr3
	s_and_saveexec_b64 s[2:3], vcc
	s_xor_b64 s[2:3], exec, s[2:3]
	s_cbranch_execz .LBB21_811
; %bb.806:
	s_mov_b32 s6, 0x387fffff
	v_cmp_lt_u32_e32 vcc, s6, v4
                                        ; implicit-def: $vgpr3
	s_and_saveexec_b64 s[6:7], vcc
	s_xor_b64 s[6:7], exec, s[6:7]
; %bb.807:
	v_bfe_u32 v3, v2, 21, 1
	s_mov_b32 s10, 0x80fffff
	v_add3_u32 v3, v2, v3, s10
	v_lshrrev_b32_e32 v3, 21, v3
; %bb.808:
	s_andn2_saveexec_b64 s[6:7], s[6:7]
; %bb.809:
	s_mov_b32 s10, 0x43000000
	v_add_f32_e64 v3, |v2|, s10
; %bb.810:
	s_or_b64 exec, exec, s[6:7]
                                        ; implicit-def: $vgpr4
.LBB21_811:
	s_andn2_saveexec_b64 s[2:3], s[2:3]
; %bb.812:
	s_mov_b32 s6, 0x7f800000
	v_mov_b32_e32 v3, 0x7c
	v_mov_b32_e32 v7, 0x7f
	v_cmp_lt_u32_e32 vcc, s6, v4
	v_cndmask_b32_e32 v3, v3, v7, vcc
; %bb.813:
	s_or_b64 exec, exec, s[2:3]
	v_lshrrev_b32_e32 v4, 24, v2
	s_movk_i32 s2, 0x80
	v_and_or_b32 v3, v4, s2, v3
	global_store_byte v[0:1], v3, off
.LBB21_814:
	s_mov_b64 s[6:7], 0
	s_mov_b64 s[2:3], -1
.LBB21_815:
	s_andn2_b64 vcc, exec, s[6:7]
	s_cbranch_vccnz .LBB21_823
; %bb.816:
	v_mov_b32_e32 v3, 14
	v_cmp_gt_i16_sdwa s[10:11], v6, v3 src0_sel:BYTE_0 src1_sel:DWORD
	s_mov_b64 s[6:7], -1
	s_and_b64 vcc, exec, s[10:11]
	s_cbranch_vccz .LBB21_820
; %bb.817:
	v_mov_b32_e32 v3, 15
	v_cmp_eq_u16_sdwa s[6:7], v6, v3 src0_sel:BYTE_0 src1_sel:DWORD
	s_mov_b64 s[0:1], -1
	s_and_b64 vcc, exec, s[6:7]
	s_cbranch_vccz .LBB21_819
; %bb.818:
	v_bfe_u32 v3, v2, 16, 1
	s_movk_i32 s0, 0x7fff
	v_add3_u32 v3, v2, v3, s0
	v_lshrrev_b32_e32 v3, 16, v3
	v_mov_b32_e32 v4, 0x7fc0
	v_cmp_o_f32_e32 vcc, v2, v2
	v_cndmask_b32_e32 v3, v4, v3, vcc
	global_store_short v[0:1], v3, off
	s_mov_b64 s[2:3], -1
	s_mov_b64 s[0:1], 0
.LBB21_819:
	s_mov_b64 s[6:7], 0
.LBB21_820:
	s_and_b64 vcc, exec, s[6:7]
	s_cbranch_vccz .LBB21_823
; %bb.821:
	v_mov_b32_e32 v3, 11
	v_cmp_eq_u16_sdwa s[6:7], v6, v3 src0_sel:BYTE_0 src1_sel:DWORD
	s_mov_b64 s[0:1], -1
	s_and_b64 vcc, exec, s[6:7]
	s_cbranch_vccz .LBB21_823
; %bb.822:
	v_cmp_neq_f32_e32 vcc, 0, v2
	v_cndmask_b32_e64 v3, 0, 1, vcc
	s_mov_b64 s[2:3], -1
	s_mov_b64 s[0:1], 0
	global_store_byte v[0:1], v3, off
.LBB21_823:
	s_mov_b64 s[6:7], 0
.LBB21_824:
	s_and_b64 vcc, exec, s[6:7]
	s_cbranch_vccz .LBB21_863
; %bb.825:
	v_mov_b32_e32 v3, 5
	v_cmp_lt_i16_sdwa s[6:7], v6, v3 src0_sel:BYTE_0 src1_sel:DWORD
	s_mov_b64 s[2:3], -1
	s_and_b64 vcc, exec, s[6:7]
	s_cbranch_vccnz .LBB21_846
; %bb.826:
	v_mov_b32_e32 v3, 8
	v_cmp_lt_i16_sdwa s[6:7], v6, v3 src0_sel:BYTE_0 src1_sel:DWORD
	s_and_b64 vcc, exec, s[6:7]
	s_cbranch_vccnz .LBB21_836
; %bb.827:
	v_mov_b32_e32 v3, 9
	v_cmp_lt_i16_sdwa s[6:7], v6, v3 src0_sel:BYTE_0 src1_sel:DWORD
	s_and_b64 vcc, exec, s[6:7]
	s_cbranch_vccnz .LBB21_833
; %bb.828:
	v_cmp_gt_i16_sdwa s[6:7], v6, v3 src0_sel:BYTE_0 src1_sel:DWORD
	s_and_b64 vcc, exec, s[6:7]
	s_cbranch_vccz .LBB21_830
; %bb.829:
	v_mov_b32_e32 v10, 0
	v_cvt_f64_f32_e32 v[8:9], v2
	v_mov_b32_e32 v11, v10
	s_mov_b64 s[2:3], 0
	global_store_dwordx4 v[0:1], v[8:11], off
.LBB21_830:
	s_andn2_b64 vcc, exec, s[2:3]
	s_cbranch_vccnz .LBB21_832
; %bb.831:
	v_mov_b32_e32 v3, 0
	global_store_dwordx2 v[0:1], v[2:3], off
.LBB21_832:
	s_mov_b64 s[2:3], 0
.LBB21_833:
	s_andn2_b64 vcc, exec, s[2:3]
	s_cbranch_vccnz .LBB21_835
; %bb.834:
	v_cvt_f16_f32_e32 v3, v2
	global_store_dword v[0:1], v3, off
.LBB21_835:
	s_mov_b64 s[2:3], 0
.LBB21_836:
	s_andn2_b64 vcc, exec, s[2:3]
	s_cbranch_vccnz .LBB21_845
; %bb.837:
	v_mov_b32_e32 v3, 6
	v_cmp_lt_i16_sdwa s[6:7], v6, v3 src0_sel:BYTE_0 src1_sel:DWORD
	s_mov_b64 s[2:3], -1
	s_and_b64 vcc, exec, s[6:7]
	s_cbranch_vccnz .LBB21_843
; %bb.838:
	v_cmp_gt_i16_sdwa s[6:7], v6, v3 src0_sel:BYTE_0 src1_sel:DWORD
	s_and_b64 vcc, exec, s[6:7]
	s_cbranch_vccz .LBB21_840
; %bb.839:
	v_cvt_f64_f32_e32 v[8:9], v2
	s_mov_b64 s[2:3], 0
	global_store_dwordx2 v[0:1], v[8:9], off
.LBB21_840:
	s_andn2_b64 vcc, exec, s[2:3]
	s_cbranch_vccnz .LBB21_842
; %bb.841:
	global_store_dword v[0:1], v2, off
.LBB21_842:
	s_mov_b64 s[2:3], 0
.LBB21_843:
	s_andn2_b64 vcc, exec, s[2:3]
	s_cbranch_vccnz .LBB21_845
; %bb.844:
	v_cvt_f16_f32_e32 v3, v2
	global_store_short v[0:1], v3, off
.LBB21_845:
	s_mov_b64 s[2:3], 0
.LBB21_846:
	s_andn2_b64 vcc, exec, s[2:3]
	s_cbranch_vccnz .LBB21_862
; %bb.847:
	v_mov_b32_e32 v3, 2
	v_cmp_lt_i16_sdwa s[6:7], v6, v3 src0_sel:BYTE_0 src1_sel:DWORD
	s_mov_b64 s[2:3], -1
	s_and_b64 vcc, exec, s[6:7]
	s_cbranch_vccnz .LBB21_857
; %bb.848:
	v_mov_b32_e32 v3, 3
	v_cmp_lt_i16_sdwa s[6:7], v6, v3 src0_sel:BYTE_0 src1_sel:DWORD
	s_and_b64 vcc, exec, s[6:7]
	s_cbranch_vccnz .LBB21_854
; %bb.849:
	v_cmp_gt_i16_sdwa s[6:7], v6, v3 src0_sel:BYTE_0 src1_sel:DWORD
	s_and_b64 vcc, exec, s[6:7]
	s_cbranch_vccz .LBB21_851
; %bb.850:
	v_trunc_f32_e32 v3, v2
	s_mov_b32 s2, 0x2f800000
	v_mul_f32_e64 v4, |v3|, s2
	v_floor_f32_e32 v4, v4
	s_mov_b32 s2, 0xcf800000
	v_cvt_u32_f32_e32 v7, v4
	v_fma_f32 v4, v4, s2, |v3|
	v_cvt_u32_f32_e32 v4, v4
	v_ashrrev_i32_e32 v3, 31, v3
	v_xor_b32_e32 v7, v7, v3
	s_mov_b64 s[2:3], 0
	v_xor_b32_e32 v4, v4, v3
	v_sub_co_u32_e32 v8, vcc, v4, v3
	v_subb_co_u32_e32 v9, vcc, v7, v3, vcc
	global_store_dwordx2 v[0:1], v[8:9], off
.LBB21_851:
	s_andn2_b64 vcc, exec, s[2:3]
	s_cbranch_vccnz .LBB21_853
; %bb.852:
	v_cvt_i32_f32_e32 v3, v2
	global_store_dword v[0:1], v3, off
.LBB21_853:
	s_mov_b64 s[2:3], 0
.LBB21_854:
	s_andn2_b64 vcc, exec, s[2:3]
	s_cbranch_vccnz .LBB21_856
; %bb.855:
	v_cvt_i32_f32_e32 v3, v2
	global_store_short v[0:1], v3, off
.LBB21_856:
	s_mov_b64 s[2:3], 0
.LBB21_857:
	s_andn2_b64 vcc, exec, s[2:3]
	s_cbranch_vccnz .LBB21_862
; %bb.858:
	v_mov_b32_e32 v3, 0
	v_cmp_gt_i16_sdwa s[6:7], v6, v3 src0_sel:BYTE_0 src1_sel:DWORD
	s_mov_b64 s[2:3], -1
	s_and_b64 vcc, exec, s[6:7]
	s_cbranch_vccz .LBB21_860
; %bb.859:
	v_cvt_i32_f32_e32 v3, v2
	s_mov_b64 s[2:3], 0
	global_store_byte v[0:1], v3, off
.LBB21_860:
	s_andn2_b64 vcc, exec, s[2:3]
	s_cbranch_vccnz .LBB21_862
; %bb.861:
	v_trunc_f32_e32 v2, v2
	s_mov_b32 s2, 0x2f800000
	v_mul_f32_e64 v3, |v2|, s2
	v_floor_f32_e32 v3, v3
	s_mov_b32 s2, 0xcf800000
	v_fma_f32 v3, v3, s2, |v2|
	v_cvt_u32_f32_e32 v3, v3
	v_ashrrev_i32_e32 v2, 31, v2
	v_xor_b32_e32 v3, v3, v2
	v_sub_u32_e32 v2, v3, v2
	global_store_byte v[0:1], v2, off
.LBB21_862:
	s_mov_b64 s[2:3], -1
.LBB21_863:
	s_andn2_b64 vcc, exec, s[2:3]
	s_cbranch_vccnz .LBB21_865
; %bb.864:
	v_add_u32_e32 v13, 0x80, v13
	s_mov_b64 s[2:3], -1
	s_branch .LBB21_867
.LBB21_865:
	s_mov_b64 s[2:3], 0
.LBB21_866:
                                        ; implicit-def: $vgpr13
.LBB21_867:
	s_andn2_b64 s[6:7], s[62:63], exec
	s_and_b64 s[0:1], s[0:1], exec
	s_or_b64 s[68:69], s[6:7], s[0:1]
	s_andn2_b64 s[0:1], s[60:61], exec
	s_and_b64 s[6:7], s[8:9], exec
	s_or_b64 s[6:7], s[0:1], s[6:7]
	s_orn2_b64 s[2:3], s[2:3], exec
.LBB21_868:
	s_or_b64 exec, exec, s[66:67]
	s_mov_b64 s[0:1], 0
	s_mov_b64 s[8:9], 0
	;; [unrolled: 1-line block ×3, first 2 shown]
                                        ; implicit-def: $vgpr2_vgpr3
                                        ; implicit-def: $vgpr0
                                        ; implicit-def: $vgpr7
	s_and_saveexec_b64 s[66:67], s[2:3]
	s_cbranch_execz .LBB21_968
; %bb.869:
	v_cmp_gt_i32_e32 vcc, s72, v13
	s_mov_b64 s[2:3], 0
	s_mov_b64 s[12:13], s[6:7]
                                        ; implicit-def: $vgpr2_vgpr3
                                        ; implicit-def: $vgpr0
                                        ; implicit-def: $vgpr7
	s_and_saveexec_b64 s[70:71], vcc
	s_cbranch_execz .LBB21_967
; %bb.870:
	s_andn2_b64 vcc, exec, s[42:43]
	s_cbranch_vccnz .LBB21_876
; %bb.871:
	s_mov_b32 s72, 0
	s_andn2_b64 vcc, exec, s[52:53]
	v_mov_b32_e32 v2, 0
	v_mov_b32_e32 v0, 0
	s_cbranch_vccnz .LBB21_882
; %bb.872:
	s_add_i32 s75, s73, 1
	s_cmp_eq_u32 s74, 2
	s_cbranch_scc1 .LBB21_877
; %bb.873:
	s_and_b32 s72, s75, 28
	s_mov_b32 s73, 0
	v_mov_b32_e32 v0, 0
	s_mov_b64 s[52:53], s[34:35]
	v_mov_b32_e32 v3, v13
	v_mov_b32_e32 v2, 0
.LBB21_874:                             ; =>This Inner Loop Header: Depth=1
	s_load_dwordx8 s[16:23], s[52:53], 0x4
	s_load_dwordx4 s[0:3], s[52:53], 0x24
	s_load_dwordx8 s[8:15], s[50:51], 0x0
	s_add_u32 s52, s52, 48
	s_addc_u32 s53, s53, 0
	s_waitcnt vmcnt(0) lgkmcnt(0)
	v_mul_hi_u32 v1, s17, v3
	v_add_u32_e32 v1, v3, v1
	v_lshrrev_b32_e32 v1, s18, v1
	v_mul_lo_u32 v4, v1, s16
	v_mul_hi_u32 v7, s20, v1
	v_sub_u32_e32 v3, v3, v4
	v_add_u32_e32 v4, v1, v7
	v_lshrrev_b32_e32 v4, s21, v4
	v_mul_lo_u32 v8, v4, s19
	v_mul_hi_u32 v9, s23, v4
	v_sub_u32_e32 v1, v1, v8
	v_add_u32_e32 v8, v4, v9
	v_mul_lo_u32 v7, v3, s9
	v_mul_lo_u32 v3, v3, s8
	;; [unrolled: 1-line block ×4, first 2 shown]
	v_lshrrev_b32_e32 v8, s0, v8
	v_add3_u32 v0, v3, v0, v1
	v_mul_hi_u32 v3, s2, v8
	v_add_u32_e32 v3, v8, v3
	v_lshrrev_b32_e32 v3, s3, v3
	s_add_i32 s73, s73, 4
	v_add3_u32 v1, v7, v2, v9
	v_mul_lo_u32 v2, v8, s22
	v_mul_lo_u32 v7, v3, s1
	s_add_u32 s50, s50, 32
	v_sub_u32_e32 v2, v4, v2
	v_sub_u32_e32 v7, v8, v7
	s_addc_u32 s51, s51, 0
	v_mul_lo_u32 v4, v2, s12
	v_mul_lo_u32 v2, v2, s13
	;; [unrolled: 1-line block ×4, first 2 shown]
	s_cmp_eq_u32 s72, s73
	v_add3_u32 v2, v2, v1, v7
	v_add3_u32 v0, v4, v0, v8
	s_cbranch_scc0 .LBB21_874
; %bb.875:
	v_mov_b32_e32 v1, v2
	s_branch .LBB21_878
.LBB21_876:
	s_mov_b64 s[0:1], -1
                                        ; implicit-def: $vgpr2
                                        ; implicit-def: $vgpr0
	s_branch .LBB21_883
.LBB21_877:
	s_mov_b32 s73, s72
	s_waitcnt vmcnt(0)
	v_pk_mov_b32 v[0:1], s[72:73], s[72:73] op_sel:[0,1]
                                        ; implicit-def: $vgpr2
	v_mov_b32_e32 v3, v13
.LBB21_878:
	s_and_b32 s8, s75, 3
	s_cmp_eq_u32 s8, 0
	s_cbranch_scc1 .LBB21_882
; %bb.879:
	s_lshl_b32 s0, s72, 3
	s_add_u32 s0, s0, s34
	s_addc_u32 s1, s35, 0
	s_add_u32 s0, s0, 0xc4
	s_addc_u32 s1, s1, 0
	s_mul_i32 s2, s72, 12
	s_add_u32 s2, s34, s2
	s_addc_u32 s3, s35, 0
.LBB21_880:                             ; =>This Inner Loop Header: Depth=1
	s_load_dwordx2 s[10:11], s[2:3], 0x4
	s_load_dword s9, s[2:3], 0xc
	s_load_dwordx2 s[12:13], s[0:1], 0x0
	v_mov_b32_e32 v2, v1
	s_add_u32 s2, s2, 12
	s_waitcnt lgkmcnt(0)
	v_mul_hi_u32 v1, s11, v3
	v_add_u32_e32 v1, v3, v1
	v_lshrrev_b32_e32 v1, s9, v1
	s_addc_u32 s3, s3, 0
	v_mul_lo_u32 v4, v1, s10
	s_add_u32 s0, s0, 8
	v_sub_u32_e32 v4, v3, v4
	v_mov_b32_e32 v3, v1
	s_addc_u32 s1, s1, 0
	s_add_i32 s8, s8, -1
	v_mad_u64_u32 v[8:9], s[10:11], v4, s13, v[2:3]
	v_mad_u64_u32 v[0:1], s[10:11], v4, s12, v[0:1]
	s_cmp_lg_u32 s8, 0
	v_mov_b32_e32 v1, v8
	s_cbranch_scc1 .LBB21_880
; %bb.881:
	v_mov_b32_e32 v2, v1
.LBB21_882:
	s_mov_b64 s[0:1], 0
.LBB21_883:
	s_andn2_b64 vcc, exec, s[0:1]
	s_cbranch_vccnz .LBB21_886
; %bb.884:
	s_waitcnt lgkmcnt(0)
	v_mul_hi_u32 v0, s37, v13
	v_add_u32_e32 v0, v13, v0
	s_waitcnt vmcnt(0)
	v_lshrrev_b32_e32 v1, s38, v0
	v_mul_lo_u32 v0, v1, s36
	v_sub_u32_e32 v0, v13, v0
	v_mul_lo_u32 v2, v0, s29
	s_andn2_b64 vcc, exec, s[48:49]
	v_mul_lo_u32 v0, v0, s28
	s_cbranch_vccnz .LBB21_886
; %bb.885:
	v_mul_hi_u32 v3, s46, v1
	v_add_u32_e32 v3, v1, v3
	v_lshrrev_b32_e32 v3, s47, v3
	v_mul_lo_u32 v3, v3, s39
	v_sub_u32_e32 v3, v1, v3
	v_mad_u64_u32 v[0:1], s[0:1], v3, s30, v[0:1]
	v_mad_u64_u32 v[2:3], s[0:1], v3, s31, v[2:3]
.LBB21_886:
	s_waitcnt vmcnt(0) lgkmcnt(0)
	v_mov_b32_e32 v1, s27
	v_add_co_u32_e32 v2, vcc, s26, v2
	v_addc_co_u32_e32 v3, vcc, 0, v1, vcc
	v_cmp_gt_i16_e32 vcc, 11, v5
	s_cbranch_vccnz .LBB21_893
; %bb.887:
	v_cmp_lt_i16_e32 vcc, 25, v5
	s_mov_b64 s[2:3], 0
	s_cbranch_vccz .LBB21_894
; %bb.888:
	v_cmp_lt_i16_e32 vcc, 28, v5
	s_cbranch_vccz .LBB21_895
; %bb.889:
	v_cmp_lt_i16_e32 vcc, 43, v5
	;; [unrolled: 3-line block ×3, first 2 shown]
	s_cbranch_vccz .LBB21_899
; %bb.891:
	v_cmp_eq_u16_e32 vcc, 46, v5
	s_mov_b64 s[10:11], 0
	s_cbranch_vccz .LBB21_902
; %bb.892:
	global_load_dword v1, v[2:3], off
	s_mov_b64 s[0:1], 0
	s_mov_b64 s[8:9], -1
	s_waitcnt vmcnt(0)
	v_lshlrev_b32_e32 v7, 16, v1
	s_branch .LBB21_903
.LBB21_893:
	s_mov_b64 s[12:13], -1
	s_mov_b64 s[8:9], 0
	s_mov_b64 s[2:3], 0
	;; [unrolled: 1-line block ×3, first 2 shown]
                                        ; implicit-def: $vgpr7
	s_branch .LBB21_966
.LBB21_894:
	s_mov_b64 s[10:11], -1
	s_mov_b64 s[8:9], 0
	s_mov_b64 s[0:1], s[6:7]
                                        ; implicit-def: $vgpr7
	s_branch .LBB21_932
.LBB21_895:
	s_mov_b64 s[10:11], -1
	s_mov_b64 s[8:9], 0
	s_mov_b64 s[0:1], s[6:7]
                                        ; implicit-def: $vgpr7
	s_branch .LBB21_913
.LBB21_896:
	s_mov_b64 s[10:11], -1
	s_mov_b64 s[8:9], 0
	s_mov_b64 s[0:1], s[6:7]
                                        ; implicit-def: $vgpr7
	s_branch .LBB21_908
.LBB21_897:
	s_or_saveexec_b64 s[10:11], s[10:11]
                                        ; implicit-def: $sgpr12
	s_xor_b64 exec, exec, s[10:11]
	s_cbranch_execz .LBB21_776
.LBB21_898:
	s_mov_b32 s12, 0x46000000
	v_add_f32_e64 v3, |v2|, s12
	v_and_b32_e32 v3, 0xff, v3
	v_cmp_ne_u32_e32 vcc, 0, v3
	s_andn2_b64 s[6:7], s[6:7], exec
	s_and_b64 s[14:15], vcc, exec
	s_mov_b32 s12, 0
	s_or_b64 s[6:7], s[6:7], s[14:15]
	s_or_b64 exec, exec, s[10:11]
	v_mov_b32_e32 v4, s12
	s_and_saveexec_b64 s[10:11], s[6:7]
	s_cbranch_execnz .LBB21_777
	s_branch .LBB21_778
.LBB21_899:
	s_mov_b64 s[10:11], -1
	s_mov_b64 s[8:9], 0
	s_mov_b64 s[0:1], s[6:7]
                                        ; implicit-def: $vgpr7
	s_branch .LBB21_903
.LBB21_900:
	s_or_saveexec_b64 s[10:11], s[10:11]
                                        ; implicit-def: $sgpr12
	s_xor_b64 exec, exec, s[10:11]
	s_cbranch_execz .LBB21_789
.LBB21_901:
	s_mov_b32 s12, 0x42800000
	v_add_f32_e64 v3, |v2|, s12
	v_and_b32_e32 v3, 0xff, v3
	v_cmp_ne_u32_e32 vcc, 0, v3
	s_andn2_b64 s[6:7], s[6:7], exec
	s_and_b64 s[14:15], vcc, exec
	s_mov_b32 s12, 0
	s_or_b64 s[6:7], s[6:7], s[14:15]
	s_or_b64 exec, exec, s[10:11]
	v_mov_b32_e32 v4, s12
	s_and_saveexec_b64 s[10:11], s[6:7]
	s_cbranch_execnz .LBB21_790
	s_branch .LBB21_791
.LBB21_902:
	s_mov_b64 s[0:1], -1
                                        ; implicit-def: $vgpr7
	s_mov_b64 s[8:9], 0
.LBB21_903:
	s_and_b64 vcc, exec, s[10:11]
	s_cbranch_vccz .LBB21_907
; %bb.904:
	v_cmp_eq_u16_e32 vcc, 44, v5
	s_cbranch_vccz .LBB21_906
; %bb.905:
	global_load_ubyte v1, v[2:3], off
	s_movk_i32 s8, 0xff
	v_mov_b32_e32 v4, 0x7f800001
	v_mov_b32_e32 v7, 0x400000
	s_mov_b64 s[0:1], 0
	s_waitcnt vmcnt(0)
	v_lshlrev_b32_e32 v8, 23, v1
	v_cmp_ne_u32_e32 vcc, s8, v1
	v_cndmask_b32_e32 v4, v4, v8, vcc
	v_cmp_ne_u32_e32 vcc, 0, v1
	v_cndmask_b32_e32 v7, v7, v4, vcc
	s_mov_b64 s[8:9], -1
	s_branch .LBB21_907
.LBB21_906:
	s_mov_b64 s[0:1], -1
                                        ; implicit-def: $vgpr7
.LBB21_907:
	s_mov_b64 s[10:11], 0
.LBB21_908:
	s_and_b64 vcc, exec, s[10:11]
	s_cbranch_vccz .LBB21_912
; %bb.909:
	v_cmp_eq_u16_e32 vcc, 29, v5
	s_cbranch_vccz .LBB21_911
; %bb.910:
	global_load_dwordx2 v[8:9], v[2:3], off
	s_mov_b64 s[0:1], 0
	s_mov_b64 s[8:9], -1
	s_mov_b64 s[10:11], 0
	s_waitcnt vmcnt(0)
	v_ffbh_u32_e32 v1, v9
	v_min_u32_e32 v1, 32, v1
	v_lshlrev_b64 v[8:9], v1, v[8:9]
	v_min_u32_e32 v4, 1, v8
	v_or_b32_e32 v4, v9, v4
	v_cvt_f32_u32_e32 v4, v4
	v_sub_u32_e32 v1, 32, v1
	v_ldexp_f32 v7, v4, v1
	s_branch .LBB21_913
.LBB21_911:
	s_mov_b64 s[0:1], -1
                                        ; implicit-def: $vgpr7
.LBB21_912:
	s_mov_b64 s[10:11], 0
.LBB21_913:
	s_and_b64 vcc, exec, s[10:11]
	s_cbranch_vccz .LBB21_931
; %bb.914:
	v_cmp_gt_i16_e32 vcc, 27, v5
	s_cbranch_vccnz .LBB21_917
; %bb.915:
	v_cmp_lt_i16_e32 vcc, 27, v5
	s_cbranch_vccz .LBB21_918
; %bb.916:
	global_load_dword v1, v[2:3], off
	s_mov_b64 s[8:9], 0
	s_waitcnt vmcnt(0)
	v_cvt_f32_u32_e32 v7, v1
	s_branch .LBB21_919
.LBB21_917:
	s_mov_b64 s[8:9], -1
                                        ; implicit-def: $vgpr7
	s_branch .LBB21_922
.LBB21_918:
	s_mov_b64 s[8:9], -1
                                        ; implicit-def: $vgpr7
.LBB21_919:
	s_andn2_b64 vcc, exec, s[8:9]
	s_cbranch_vccnz .LBB21_921
; %bb.920:
	global_load_ushort v1, v[2:3], off
	s_waitcnt vmcnt(0)
	v_cvt_f32_u32_e32 v7, v1
.LBB21_921:
	s_mov_b64 s[8:9], 0
.LBB21_922:
	s_andn2_b64 vcc, exec, s[8:9]
	s_cbranch_vccnz .LBB21_930
; %bb.923:
	global_load_ubyte v1, v[2:3], off
	s_movk_i32 s8, 0x7f
                                        ; implicit-def: $sgpr14
	s_waitcnt vmcnt(0)
	v_cmp_lt_i16_e32 vcc, s8, v1
	s_mov_b64 s[8:9], 0
	s_and_saveexec_b64 s[10:11], vcc
	s_xor_b64 s[10:11], exec, s[10:11]
	s_cbranch_execz .LBB21_944
; %bb.924:
	s_movk_i32 s8, 0x80
	v_cmp_eq_u16_e32 vcc, s8, v1
	s_mov_b64 s[8:9], -1
                                        ; implicit-def: $sgpr14
	s_and_saveexec_b64 s[12:13], vcc
; %bb.925:
	s_mov_b32 s14, 0x7f800001
	s_xor_b64 s[8:9], exec, -1
; %bb.926:
	s_or_b64 exec, exec, s[12:13]
	s_and_b64 s[8:9], s[8:9], exec
	s_or_saveexec_b64 s[10:11], s[10:11]
	v_mov_b32_e32 v7, s14
	s_xor_b64 exec, exec, s[10:11]
	s_cbranch_execnz .LBB21_945
.LBB21_927:
	s_or_b64 exec, exec, s[10:11]
	s_and_saveexec_b64 s[10:11], s[8:9]
	s_cbranch_execz .LBB21_929
.LBB21_928:
	v_lshlrev_b32_e32 v4, 24, v1
	v_and_b32_e32 v1, 0xffff, v1
	v_and_b32_e32 v7, 7, v1
	v_ffbh_u32_e32 v9, v7
	v_min_u32_e32 v9, 32, v9
	v_subrev_u32_e32 v10, 28, v9
	v_bfe_u32 v8, v1, 3, 4
	v_lshlrev_b32_e32 v1, v10, v1
	v_sub_u32_e32 v9, 29, v9
	v_and_b32_e32 v1, 7, v1
	v_cmp_eq_u32_e32 vcc, 0, v8
	v_cndmask_b32_e32 v8, v8, v9, vcc
	v_cndmask_b32_e32 v1, v7, v1, vcc
	v_mov_b32_e32 v7, 0x3b800000
	v_lshlrev_b32_e32 v1, 20, v1
	v_and_b32_e32 v4, 0x80000000, v4
	v_lshl_add_u32 v7, v8, 23, v7
	v_or3_b32 v7, v4, v7, v1
.LBB21_929:
	s_or_b64 exec, exec, s[10:11]
.LBB21_930:
	s_mov_b64 s[8:9], -1
.LBB21_931:
	s_mov_b64 s[10:11], 0
.LBB21_932:
	s_and_b64 vcc, exec, s[10:11]
	s_cbranch_vccz .LBB21_965
; %bb.933:
	v_cmp_lt_i16_e32 vcc, 22, v5
	s_cbranch_vccz .LBB21_943
; %bb.934:
	v_cmp_gt_i16_e32 vcc, 24, v5
	s_cbranch_vccnz .LBB21_946
; %bb.935:
	v_cmp_lt_i16_e32 vcc, 24, v5
	s_cbranch_vccz .LBB21_947
; %bb.936:
	global_load_ubyte v1, v[2:3], off
	s_movk_i32 s2, 0x7f
                                        ; implicit-def: $sgpr12
	s_waitcnt vmcnt(0)
	v_cmp_lt_i16_e32 vcc, s2, v1
	s_mov_b64 s[2:3], 0
	s_and_saveexec_b64 s[8:9], vcc
	s_xor_b64 s[8:9], exec, s[8:9]
	s_cbranch_execz .LBB21_959
; %bb.937:
	s_movk_i32 s2, 0x80
	v_cmp_eq_u16_e32 vcc, s2, v1
	s_mov_b64 s[2:3], -1
                                        ; implicit-def: $sgpr12
	s_and_saveexec_b64 s[10:11], vcc
; %bb.938:
	s_mov_b32 s12, 0x7f800001
	s_xor_b64 s[2:3], exec, -1
; %bb.939:
	s_or_b64 exec, exec, s[10:11]
	s_and_b64 s[2:3], s[2:3], exec
	s_or_saveexec_b64 s[8:9], s[8:9]
	v_mov_b32_e32 v7, s12
	s_xor_b64 exec, exec, s[8:9]
	s_cbranch_execnz .LBB21_960
.LBB21_940:
	s_or_b64 exec, exec, s[8:9]
	s_and_saveexec_b64 s[8:9], s[2:3]
	s_cbranch_execz .LBB21_942
.LBB21_941:
	v_lshlrev_b32_e32 v4, 24, v1
	v_and_b32_e32 v1, 0xffff, v1
	v_and_b32_e32 v7, 3, v1
	v_ffbh_u32_e32 v9, v7
	v_min_u32_e32 v9, 32, v9
	v_subrev_u32_e32 v10, 29, v9
	v_bfe_u32 v8, v1, 2, 5
	v_lshlrev_b32_e32 v1, v10, v1
	v_sub_u32_e32 v9, 30, v9
	v_and_b32_e32 v1, 3, v1
	v_cmp_eq_u32_e32 vcc, 0, v8
	v_cndmask_b32_e32 v8, v8, v9, vcc
	v_cndmask_b32_e32 v1, v7, v1, vcc
	v_mov_b32_e32 v7, 0x37800000
	v_lshlrev_b32_e32 v1, 21, v1
	v_and_b32_e32 v4, 0x80000000, v4
	v_lshl_add_u32 v7, v8, 23, v7
	v_or3_b32 v7, v4, v7, v1
.LBB21_942:
	s_or_b64 exec, exec, s[8:9]
	s_mov_b64 s[2:3], 0
	s_branch .LBB21_948
.LBB21_943:
	s_mov_b64 s[2:3], -1
                                        ; implicit-def: $vgpr7
	s_branch .LBB21_954
.LBB21_944:
	s_or_saveexec_b64 s[10:11], s[10:11]
	v_mov_b32_e32 v7, s14
	s_xor_b64 exec, exec, s[10:11]
	s_cbranch_execz .LBB21_927
.LBB21_945:
	v_cmp_ne_u16_e32 vcc, 0, v1
	s_andn2_b64 s[8:9], s[8:9], exec
	s_and_b64 s[12:13], vcc, exec
	v_mov_b32_e32 v7, 0
	s_or_b64 s[8:9], s[8:9], s[12:13]
	s_or_b64 exec, exec, s[10:11]
	s_and_saveexec_b64 s[10:11], s[8:9]
	s_cbranch_execnz .LBB21_928
	s_branch .LBB21_929
.LBB21_946:
	s_mov_b64 s[2:3], -1
                                        ; implicit-def: $vgpr7
	s_branch .LBB21_951
.LBB21_947:
	s_mov_b64 s[2:3], -1
                                        ; implicit-def: $vgpr7
.LBB21_948:
	s_and_b64 vcc, exec, s[2:3]
	s_cbranch_vccz .LBB21_950
; %bb.949:
	global_load_ubyte v1, v[2:3], off
	s_mov_b32 s2, 0x7f800000
	s_waitcnt vmcnt(0)
	v_lshlrev_b32_e32 v1, 24, v1
	v_and_b32_e32 v4, 0x7f000000, v1
	v_ffbh_u32_e32 v7, v4
	v_min_u32_e32 v7, 32, v7
	v_sub_u32_e64 v7, v7, 4 clamp
	v_lshlrev_b32_e32 v9, v7, v4
	v_lshlrev_b32_e32 v7, 23, v7
	v_lshrrev_b32_e32 v9, 4, v9
	v_add_u32_e32 v8, 0x1000000, v4
	v_sub_u32_e32 v7, v9, v7
	v_ashrrev_i32_e32 v8, 8, v8
	v_add_u32_e32 v7, 0x3c000000, v7
	v_and_or_b32 v7, v8, s2, v7
	v_cmp_ne_u32_e32 vcc, 0, v4
	v_cndmask_b32_e32 v4, 0, v7, vcc
	s_brev_b32 s2, 1
	v_and_or_b32 v7, v1, s2, v4
.LBB21_950:
	s_mov_b64 s[2:3], 0
.LBB21_951:
	s_andn2_b64 vcc, exec, s[2:3]
	s_cbranch_vccnz .LBB21_953
; %bb.952:
	global_load_ubyte v1, v[2:3], off
	s_movk_i32 s2, 0x7f00
	s_brev_b32 s3, 16
	s_waitcnt vmcnt(0)
	v_lshlrev_b16_e32 v4, 8, v1
	v_lshlrev_b32_e32 v1, 25, v1
	v_lshrrev_b32_e32 v7, 4, v1
	v_and_or_b32 v8, v4, s2, 0.5
	v_or_b32_e32 v7, 0x70000000, v7
	v_add_f32_e32 v8, -0.5, v8
	v_mul_f32_e32 v7, 0x7800000, v7
	v_cmp_gt_u32_e32 vcc, s3, v1
	v_bfe_i32 v4, v4, 0, 16
	v_cndmask_b32_e32 v1, v7, v8, vcc
	s_brev_b32 s2, 1
	v_and_or_b32 v7, v4, s2, v1
.LBB21_953:
	s_mov_b64 s[2:3], 0
	s_mov_b64 s[8:9], -1
.LBB21_954:
	s_andn2_b64 vcc, exec, s[2:3]
	s_mov_b64 s[2:3], 0
	s_cbranch_vccnz .LBB21_965
; %bb.955:
	v_cmp_lt_i16_e32 vcc, 14, v5
	s_cbranch_vccz .LBB21_958
; %bb.956:
	v_cmp_eq_u16_e32 vcc, 15, v5
	s_cbranch_vccz .LBB21_961
; %bb.957:
	global_load_ushort v1, v[2:3], off
	s_mov_b64 s[0:1], 0
	s_mov_b64 s[8:9], -1
	s_waitcnt vmcnt(0)
	v_lshlrev_b32_e32 v7, 16, v1
	s_branch .LBB21_962
.LBB21_958:
	s_mov_b64 s[10:11], -1
                                        ; implicit-def: $vgpr7
	s_branch .LBB21_963
.LBB21_959:
	s_or_saveexec_b64 s[8:9], s[8:9]
	v_mov_b32_e32 v7, s12
	s_xor_b64 exec, exec, s[8:9]
	s_cbranch_execz .LBB21_940
.LBB21_960:
	v_cmp_ne_u16_e32 vcc, 0, v1
	s_andn2_b64 s[2:3], s[2:3], exec
	s_and_b64 s[10:11], vcc, exec
	v_mov_b32_e32 v7, 0
	s_or_b64 s[2:3], s[2:3], s[10:11]
	s_or_b64 exec, exec, s[8:9]
	s_and_saveexec_b64 s[8:9], s[2:3]
	s_cbranch_execnz .LBB21_941
	s_branch .LBB21_942
.LBB21_961:
	s_mov_b64 s[0:1], -1
                                        ; implicit-def: $vgpr7
.LBB21_962:
	s_mov_b64 s[10:11], 0
.LBB21_963:
	s_and_b64 vcc, exec, s[10:11]
	s_cbranch_vccz .LBB21_965
; %bb.964:
	v_cmp_ne_u16_e32 vcc, 11, v5
	s_andn2_b64 s[0:1], s[0:1], exec
	s_and_b64 s[10:11], vcc, exec
	s_mov_b64 s[2:3], -1
	s_or_b64 s[0:1], s[0:1], s[10:11]
                                        ; implicit-def: $vgpr7
.LBB21_965:
	s_mov_b64 s[12:13], 0
.LBB21_966:
	s_and_b64 s[10:11], s[8:9], exec
	s_and_b64 s[8:9], s[12:13], exec
	s_andn2_b64 s[12:13], s[6:7], exec
	s_and_b64 s[0:1], s[0:1], exec
	s_and_b64 s[2:3], s[2:3], exec
	s_or_b64 s[12:13], s[12:13], s[0:1]
.LBB21_967:
	s_or_b64 exec, exec, s[70:71]
	s_and_b64 s[0:1], s[2:3], exec
	s_andn2_b64 s[2:3], s[6:7], exec
	s_and_b64 s[6:7], s[12:13], exec
	s_and_b64 s[10:11], s[10:11], exec
	;; [unrolled: 1-line block ×3, first 2 shown]
	s_or_b64 s[6:7], s[2:3], s[6:7]
.LBB21_968:
	s_or_b64 exec, exec, s[66:67]
	s_andn2_b64 s[2:3], s[62:63], exec
	s_and_b64 s[12:13], s[68:69], exec
	s_or_b64 s[62:63], s[2:3], s[12:13]
	s_and_b64 s[2:3], s[0:1], exec
	s_andn2_b64 s[0:1], s[60:61], exec
	s_and_b64 s[6:7], s[6:7], exec
	s_and_b64 s[10:11], s[10:11], exec
	;; [unrolled: 1-line block ×3, first 2 shown]
	s_or_b64 s[60:61], s[0:1], s[6:7]
.LBB21_969:
	s_or_b64 exec, exec, s[64:65]
	s_andn2_b64 s[0:1], s[54:55], exec
	s_and_b64 s[6:7], s[62:63], exec
	s_or_b64 s[54:55], s[0:1], s[6:7]
	s_and_b64 s[6:7], s[8:9], exec
	s_and_b64 s[62:63], s[2:3], exec
	s_andn2_b64 s[2:3], s[56:57], exec
	s_and_b64 s[8:9], s[60:61], exec
	s_and_b64 s[0:1], s[10:11], exec
	s_or_b64 s[56:57], s[2:3], s[8:9]
	s_or_b64 exec, exec, s[58:59]
	s_mov_b64 s[8:9], 0
	s_and_saveexec_b64 s[2:3], s[56:57]
	s_cbranch_execz .LBB21_292
.LBB21_970:
	s_mov_b64 s[8:9], exec
	s_andn2_b64 s[62:63], s[62:63], exec
	s_trap 2
                                        ; implicit-def: $vgpr7
	s_or_b64 exec, exec, s[2:3]
	s_and_saveexec_b64 s[2:3], s[62:63]
	s_xor_b64 s[2:3], exec, s[2:3]
	s_cbranch_execnz .LBB21_293
.LBB21_971:
	s_or_b64 exec, exec, s[2:3]
	s_and_saveexec_b64 s[2:3], s[6:7]
	s_cbranch_execz .LBB21_1017
.LBB21_972:
	v_cmp_gt_i16_e32 vcc, 5, v5
	s_cbranch_vccnz .LBB21_977
; %bb.973:
	v_cmp_gt_i16_e32 vcc, 8, v5
	s_cbranch_vccnz .LBB21_978
; %bb.974:
	;; [unrolled: 3-line block ×3, first 2 shown]
	v_cmp_lt_i16_e32 vcc, 9, v5
	s_cbranch_vccz .LBB21_980
; %bb.976:
	global_load_dwordx2 v[8:9], v[2:3], off
	s_mov_b64 s[6:7], 0
	s_waitcnt vmcnt(0)
	v_cvt_f32_f64_e32 v7, v[8:9]
	s_branch .LBB21_981
.LBB21_977:
                                        ; implicit-def: $vgpr7
	s_branch .LBB21_998
.LBB21_978:
                                        ; implicit-def: $vgpr7
	s_branch .LBB21_987
.LBB21_979:
	s_mov_b64 s[6:7], -1
                                        ; implicit-def: $vgpr7
	s_branch .LBB21_984
.LBB21_980:
	s_mov_b64 s[6:7], -1
                                        ; implicit-def: $vgpr7
.LBB21_981:
	s_andn2_b64 vcc, exec, s[6:7]
	s_cbranch_vccnz .LBB21_983
; %bb.982:
	global_load_dword v7, v[2:3], off
.LBB21_983:
	s_mov_b64 s[6:7], 0
.LBB21_984:
	s_andn2_b64 vcc, exec, s[6:7]
	s_cbranch_vccnz .LBB21_986
; %bb.985:
	global_load_dword v1, v[2:3], off
	s_waitcnt vmcnt(0)
	v_cvt_f32_f16_e32 v7, v1
.LBB21_986:
	s_cbranch_execnz .LBB21_997
.LBB21_987:
	v_cmp_gt_i16_e32 vcc, 6, v5
	s_cbranch_vccnz .LBB21_990
; %bb.988:
	v_cmp_lt_i16_e32 vcc, 6, v5
	s_cbranch_vccz .LBB21_991
; %bb.989:
	global_load_dwordx2 v[8:9], v[2:3], off
	s_mov_b64 s[6:7], 0
	s_waitcnt vmcnt(0)
	v_cvt_f32_f64_e32 v7, v[8:9]
	s_branch .LBB21_992
.LBB21_990:
	s_mov_b64 s[6:7], -1
                                        ; implicit-def: $vgpr7
	s_branch .LBB21_995
.LBB21_991:
	s_mov_b64 s[6:7], -1
                                        ; implicit-def: $vgpr7
.LBB21_992:
	s_andn2_b64 vcc, exec, s[6:7]
	s_cbranch_vccnz .LBB21_994
; %bb.993:
	global_load_dword v7, v[2:3], off
.LBB21_994:
	s_mov_b64 s[6:7], 0
.LBB21_995:
	s_andn2_b64 vcc, exec, s[6:7]
	s_cbranch_vccnz .LBB21_997
; %bb.996:
	global_load_ushort v1, v[2:3], off
	s_waitcnt vmcnt(0)
	v_cvt_f32_f16_e32 v7, v1
.LBB21_997:
	s_cbranch_execnz .LBB21_1016
.LBB21_998:
	v_cmp_gt_i16_e32 vcc, 2, v5
	s_cbranch_vccnz .LBB21_1002
; %bb.999:
	v_cmp_gt_i16_e32 vcc, 3, v5
	s_cbranch_vccnz .LBB21_1003
; %bb.1000:
	v_cmp_lt_i16_e32 vcc, 3, v5
	s_cbranch_vccz .LBB21_1004
; %bb.1001:
	global_load_dwordx2 v[8:9], v[2:3], off
	s_mov_b64 s[6:7], 0
	s_waitcnt vmcnt(0)
	v_xor_b32_e32 v4, v8, v9
	v_ffbh_i32_e32 v1, v9
	v_ashrrev_i32_e32 v4, 31, v4
	v_add_u32_e32 v1, -1, v1
	v_add_u32_e32 v4, 32, v4
	v_min_u32_e32 v1, v1, v4
	v_lshlrev_b64 v[8:9], v1, v[8:9]
	v_min_u32_e32 v4, 1, v8
	v_or_b32_e32 v4, v9, v4
	v_cvt_f32_i32_e32 v4, v4
	v_sub_u32_e32 v1, 32, v1
	v_ldexp_f32 v7, v4, v1
	s_branch .LBB21_1005
.LBB21_1002:
                                        ; implicit-def: $vgpr7
	s_branch .LBB21_1011
.LBB21_1003:
	s_mov_b64 s[6:7], -1
                                        ; implicit-def: $vgpr7
	s_branch .LBB21_1008
.LBB21_1004:
	s_mov_b64 s[6:7], -1
                                        ; implicit-def: $vgpr7
.LBB21_1005:
	s_andn2_b64 vcc, exec, s[6:7]
	s_cbranch_vccnz .LBB21_1007
; %bb.1006:
	global_load_dword v1, v[2:3], off
	s_waitcnt vmcnt(0)
	v_cvt_f32_i32_e32 v7, v1
.LBB21_1007:
	s_mov_b64 s[6:7], 0
.LBB21_1008:
	s_andn2_b64 vcc, exec, s[6:7]
	s_cbranch_vccnz .LBB21_1010
; %bb.1009:
	global_load_sshort v1, v[2:3], off
	s_waitcnt vmcnt(0)
	v_cvt_f32_i32_e32 v7, v1
.LBB21_1010:
	s_cbranch_execnz .LBB21_1016
.LBB21_1011:
	v_cmp_lt_i16_e32 vcc, 0, v5
	s_cbranch_vccz .LBB21_1013
; %bb.1012:
	global_load_sbyte v1, v[2:3], off
	s_mov_b64 s[6:7], 0
	s_waitcnt vmcnt(0)
	v_cvt_f32_i32_e32 v7, v1
	s_branch .LBB21_1014
.LBB21_1013:
	s_mov_b64 s[6:7], -1
                                        ; implicit-def: $vgpr7
.LBB21_1014:
	s_andn2_b64 vcc, exec, s[6:7]
	s_cbranch_vccnz .LBB21_1016
; %bb.1015:
	global_load_ubyte v1, v[2:3], off
	s_waitcnt vmcnt(0)
	v_cvt_f32_ubyte0_e32 v7, v1
.LBB21_1016:
	s_or_b64 s[0:1], s[0:1], exec
.LBB21_1017:
	s_or_b64 exec, exec, s[2:3]
	s_mov_b64 s[6:7], 0
	s_mov_b64 s[2:3], 0
                                        ; implicit-def: $vgpr1
                                        ; implicit-def: $vgpr4_vgpr5
                                        ; implicit-def: $vgpr2
	s_and_saveexec_b64 s[10:11], s[0:1]
	s_cbranch_execz .LBB21_1027
; %bb.1018:
	s_waitcnt vmcnt(0)
	v_cmp_gt_f32_e32 vcc, 0, v7
	v_cndmask_b32_e64 v1, v7, -v7, vcc
	s_mov_b32 s0, 0x40a00000
	v_cmp_ge_f32_e32 vcc, s0, v1
	v_mul_f32_e32 v4, v1, v1
                                        ; implicit-def: $vgpr2
	s_and_saveexec_b64 s[0:1], vcc
	s_xor_b64 s[0:1], exec, s[0:1]
	s_cbranch_execz .LBB21_1024
; %bb.1019:
	s_mov_b32 s2, 0x3727c5ac
	v_cmp_ngt_f32_e32 vcc, s2, v1
                                        ; implicit-def: $vgpr2
	s_and_saveexec_b64 s[2:3], vcc
	s_xor_b64 s[2:3], exec, s[2:3]
	s_cbranch_execz .LBB21_1021
; %bb.1020:
	v_mov_b32_e32 v1, 0x43f9c815
	v_fmac_f32_e32 v1, 0, v4
	v_mov_b32_e32 v3, 0x4829b65a
	v_fmac_f32_e32 v3, v4, v1
	;; [unrolled: 2-line block ×4, first 2 shown]
	s_mov_b32 s6, 0xcf8ee29d
	v_mul_f32_e32 v2, 0, v4
	v_mul_f32_e32 v3, v4, v3
	s_mov_b32 s7, 0x53f5f59c
	v_pk_add_f32 v[2:3], v[2:3], s[6:7]
	s_mov_b32 s6, 0x53e3ba8e
	s_mov_b32 s7, 0x578d3514
	v_pk_fma_f32 v[2:3], v[4:5], v[2:3], s[6:7] op_sel_hi:[0,1,1]
	s_mov_b32 s6, 0xd762b0a7
	s_mov_b32 s7, 0x5ae20a0c
	v_pk_fma_f32 v[2:3], v[4:5], v[2:3], s[6:7] op_sel_hi:[0,1,1]
	;; [unrolled: 3-line block ×3, first 2 shown]
	s_mov_b32 s6, 0xc0b90fdc
	s_mov_b32 s7, 0xc1f3c525
	v_pk_add_f32 v[4:5], v[4:5], s[6:7] op_sel_hi:[0,1]
	v_mul_f32_e32 v1, v4, v5
	v_mul_f32_e32 v1, v1, v2
	v_div_scale_f32 v2, s[6:7], v3, v3, v1
	v_rcp_f32_e32 v4, v2
	v_fma_f32 v5, -v2, v4, 1.0
	v_fmac_f32_e32 v4, v5, v4
	v_div_scale_f32 v5, vcc, v1, v3, v1
	v_mul_f32_e32 v7, v5, v4
	v_fma_f32 v8, -v2, v7, v5
	v_fmac_f32_e32 v7, v8, v4
	v_fma_f32 v2, -v2, v7, v5
	v_div_fmas_f32 v2, v2, v4, v7
	v_div_fixup_f32 v2, v2, v3, v1
                                        ; implicit-def: $vgpr4
.LBB21_1021:
	s_andn2_saveexec_b64 s[2:3], s[2:3]
; %bb.1022:
	s_mov_b32 s6, 0xbe800000
	v_fma_f32 v2, v4, s6, 1.0
; %bb.1023:
	s_or_b64 exec, exec, s[2:3]
                                        ; implicit-def: $vgpr4
                                        ; implicit-def: $vgpr1
.LBB21_1024:
	s_andn2_saveexec_b64 s[12:13], s[0:1]
	s_cbranch_execz .LBB21_1037
; %bb.1025:
	v_add_f32_e32 v2, 0xbf490fdb, v1
	s_brev_b32 s0, 18
	v_and_b32_e32 v3, 0x7fffffff, v2
	v_cmp_nlt_f32_e64 s[14:15], |v2|, s0
                                        ; implicit-def: $vgpr5
                                        ; implicit-def: $vgpr7
	s_and_saveexec_b64 s[0:1], s[14:15]
	s_xor_b64 s[16:17], exec, s[0:1]
	s_cbranch_execz .LBB21_1030
; %bb.1026:
	v_lshrrev_b32_e32 v5, 23, v3
	v_add_u32_e32 v5, 0xffffff88, v5
	v_not_b32_e32 v7, 63
	v_cmp_lt_u32_e32 vcc, 63, v5
	v_cndmask_b32_e32 v7, 0, v7, vcc
	v_add_u32_e32 v5, v7, v5
	v_not_b32_e32 v7, 31
	v_cmp_lt_u32_e64 s[0:1], 31, v5
	v_cndmask_b32_e64 v8, 0, v7, s[0:1]
	v_add_u32_e32 v5, v8, v5
	v_cmp_lt_u32_e64 s[2:3], 31, v5
	v_cndmask_b32_e64 v7, 0, v7, s[2:3]
	v_add_u32_e32 v5, v7, v5
	v_and_b32_e32 v7, 0x7fffff, v3
	v_or_b32_e32 v7, 0x800000, v7
	s_mov_b32 s6, 0xfe5163ab
	v_mad_u64_u32 v[10:11], s[6:7], v7, s6, 0
	v_mov_b32_e32 v9, 0
	v_mov_b32_e32 v8, v11
	s_mov_b32 s6, 0x3c439041
	v_mad_u64_u32 v[12:13], s[6:7], v7, s6, v[8:9]
	v_mov_b32_e32 v8, v13
	s_mov_b32 s6, 0xdb629599
	v_mad_u64_u32 v[14:15], s[6:7], v7, s6, v[8:9]
	;; [unrolled: 3-line block ×6, first 2 shown]
	v_cndmask_b32_e32 v11, v20, v16, vcc
	v_cndmask_b32_e32 v7, v8, v18, vcc
	;; [unrolled: 1-line block ×3, first 2 shown]
	v_cndmask_b32_e64 v8, v7, v11, s[0:1]
	v_cndmask_b32_e64 v7, v9, v7, s[0:1]
	v_cndmask_b32_e32 v9, v18, v14, vcc
	v_cndmask_b32_e64 v11, v11, v9, s[0:1]
	v_cndmask_b32_e64 v7, v7, v8, s[2:3]
	;; [unrolled: 1-line block ×3, first 2 shown]
	v_sub_u32_e32 v13, 32, v5
	v_alignbit_b32 v15, v7, v8, v13
	v_cmp_eq_u32_e64 s[6:7], 0, v5
	v_cndmask_b32_e64 v5, v15, v7, s[6:7]
	v_cndmask_b32_e32 v7, v16, v12, vcc
	v_cndmask_b32_e64 v9, v9, v7, s[0:1]
	v_cndmask_b32_e64 v11, v11, v9, s[2:3]
	v_alignbit_b32 v12, v8, v11, v13
	v_cndmask_b32_e64 v8, v12, v8, s[6:7]
	v_bfe_u32 v16, v5, 29, 1
	v_cndmask_b32_e32 v10, v14, v10, vcc
	v_alignbit_b32 v12, v5, v8, 30
	v_sub_u32_e32 v17, 0, v16
	v_cndmask_b32_e64 v7, v7, v10, s[0:1]
	v_xor_b32_e32 v18, v12, v17
	v_cndmask_b32_e64 v7, v9, v7, s[2:3]
	v_alignbit_b32 v9, v11, v7, v13
	v_ffbh_u32_e32 v10, v18
	v_cndmask_b32_e64 v9, v9, v11, s[6:7]
	v_add_u32_e32 v10, 1, v10
	v_cmp_ne_u32_e32 vcc, v12, v17
	v_alignbit_b32 v8, v8, v9, 30
	v_cndmask_b32_e32 v10, 33, v10, vcc
	v_alignbit_b32 v7, v9, v7, 30
	v_xor_b32_e32 v8, v8, v17
	v_sub_u32_e32 v11, 32, v10
	v_xor_b32_e32 v7, v7, v17
	v_alignbit_b32 v12, v18, v8, v11
	v_alignbit_b32 v7, v8, v7, v11
	;; [unrolled: 1-line block ×3, first 2 shown]
	v_ffbh_u32_e32 v9, v8
	v_min_u32_e32 v9, 32, v9
	v_lshrrev_b32_e32 v15, 29, v5
	v_sub_u32_e32 v11, 31, v9
	v_alignbit_b32 v7, v8, v7, v11
	v_lshlrev_b32_e32 v8, 31, v15
	v_or_b32_e32 v11, 0x33800000, v8
	v_add_lshl_u32 v9, v9, v10, 23
	v_lshrrev_b32_e32 v7, 9, v7
	v_sub_u32_e32 v9, v11, v9
	v_or_b32_e32 v7, v9, v7
	v_alignbit_b32 v9, v10, v12, 9
	v_or_b32_e32 v8, v9, v8
	v_xor_b32_e32 v8, 1.0, v8
	s_mov_b32 s0, 0x3fc90fda
	v_mul_f32_e32 v9, 0x3fc90fda, v8
	v_fma_f32 v10, v8, s0, -v9
	v_fmac_f32_e32 v10, 0x33a22168, v8
	v_fmac_f32_e32 v10, 0x3fc90fda, v7
	v_lshrrev_b32_e32 v5, 30, v5
	v_add_f32_e32 v7, v9, v10
	v_add_u32_e32 v5, v16, v5
	s_andn2_saveexec_b64 s[0:1], s[16:17]
	s_branch .LBB21_1031
.LBB21_1027:
	s_or_b64 exec, exec, s[10:11]
	s_and_saveexec_b64 s[0:1], s[54:55]
	s_cbranch_execnz .LBB21_1114
.LBB21_1028:
	s_or_b64 exec, exec, s[0:1]
	s_and_saveexec_b64 s[0:1], s[6:7]
	s_xor_b64 s[0:1], exec, s[0:1]
	s_cbranch_execz .LBB21_1115
.LBB21_1029:
	v_cmp_neq_f32_e32 vcc, 0, v2
	v_cndmask_b32_e64 v0, 0, 1, vcc
	global_store_byte v[4:5], v0, off
	s_or_b64 exec, exec, s[0:1]
	s_and_saveexec_b64 s[0:1], s[2:3]
	s_xor_b64 s[0:1], exec, s[0:1]
	s_cbranch_execz .LBB21_1153
	s_branch .LBB21_1116
.LBB21_1030:
	s_andn2_saveexec_b64 s[0:1], s[16:17]
.LBB21_1031:
	s_mov_b32 s2, 0x3f22f983
	v_mul_f32_e64 v5, |v2|, s2
	v_rndne_f32_e32 v8, v5
	s_mov_b32 s2, 0xbfc90fda
	v_cvt_i32_f32_e32 v5, v8
	v_fma_f32 v7, v8, s2, |v2|
	v_fmac_f32_e32 v7, 0xb3a22168, v8
	v_fmac_f32_e32 v7, 0xa7c234c4, v8
; %bb.1032:
	s_or_b64 exec, exec, s[0:1]
                                        ; implicit-def: $vgpr8
                                        ; implicit-def: $vgpr9
	s_and_saveexec_b64 s[0:1], s[14:15]
	s_xor_b64 s[14:15], exec, s[0:1]
	s_cbranch_execz .LBB21_1034
; %bb.1033:
	v_lshrrev_b32_e32 v8, 23, v3
	v_add_u32_e32 v8, 0xffffff88, v8
	v_not_b32_e32 v10, 63
	v_cmp_lt_u32_e32 vcc, 63, v8
	v_cndmask_b32_e32 v10, 0, v10, vcc
	v_add_u32_e32 v8, v10, v8
	v_not_b32_e32 v10, 31
	v_cmp_lt_u32_e64 s[0:1], 31, v8
	v_cndmask_b32_e64 v11, 0, v10, s[0:1]
	v_add_u32_e32 v8, v11, v8
	v_cmp_lt_u32_e64 s[2:3], 31, v8
	v_cndmask_b32_e64 v10, 0, v10, s[2:3]
	v_add_u32_e32 v22, v10, v8
	v_and_b32_e32 v8, 0x7fffff, v3
	v_or_b32_e32 v23, 0x800000, v8
	s_mov_b32 s6, 0xfe5163ab
	v_mad_u64_u32 v[10:11], s[6:7], v23, s6, 0
	v_mov_b32_e32 v9, 0
	v_mov_b32_e32 v8, v11
	s_mov_b32 s6, 0x3c439041
	v_mad_u64_u32 v[12:13], s[6:7], v23, s6, v[8:9]
	v_mov_b32_e32 v8, v13
	s_mov_b32 s6, 0xdb629599
	v_mad_u64_u32 v[14:15], s[6:7], v23, s6, v[8:9]
	;; [unrolled: 3-line block ×6, first 2 shown]
	v_cndmask_b32_e32 v11, v20, v16, vcc
	v_cndmask_b32_e32 v8, v8, v18, vcc
	v_cndmask_b32_e32 v9, v9, v20, vcc
	v_cndmask_b32_e64 v13, v8, v11, s[0:1]
	v_cndmask_b32_e64 v8, v9, v8, s[0:1]
	v_cndmask_b32_e32 v9, v18, v14, vcc
	v_cndmask_b32_e64 v11, v11, v9, s[0:1]
	v_cndmask_b32_e32 v12, v16, v12, vcc
	v_cndmask_b32_e64 v8, v8, v13, s[2:3]
	v_cndmask_b32_e64 v13, v13, v11, s[2:3]
	v_sub_u32_e32 v15, 32, v22
	v_cndmask_b32_e64 v9, v9, v12, s[0:1]
	v_alignbit_b32 v17, v8, v13, v15
	v_cmp_eq_u32_e64 s[6:7], 0, v22
	v_cndmask_b32_e64 v11, v11, v9, s[2:3]
	v_cndmask_b32_e64 v8, v17, v8, s[6:7]
	v_alignbit_b32 v16, v13, v11, v15
	v_cndmask_b32_e64 v13, v16, v13, s[6:7]
	v_bfe_u32 v18, v8, 29, 1
	v_cndmask_b32_e32 v10, v14, v10, vcc
	v_alignbit_b32 v16, v8, v13, 30
	v_sub_u32_e32 v19, 0, v18
	v_cndmask_b32_e64 v10, v12, v10, s[0:1]
	v_xor_b32_e32 v20, v16, v19
	v_cndmask_b32_e64 v9, v9, v10, s[2:3]
	v_alignbit_b32 v10, v11, v9, v15
	v_ffbh_u32_e32 v12, v20
	v_cndmask_b32_e64 v10, v10, v11, s[6:7]
	v_add_u32_e32 v12, 1, v12
	v_cmp_ne_u32_e32 vcc, v16, v19
	v_alignbit_b32 v11, v13, v10, 30
	v_cndmask_b32_e32 v12, 33, v12, vcc
	v_alignbit_b32 v9, v10, v9, 30
	v_xor_b32_e32 v11, v11, v19
	v_sub_u32_e32 v13, 32, v12
	v_xor_b32_e32 v9, v9, v19
	v_alignbit_b32 v14, v20, v11, v13
	v_alignbit_b32 v9, v11, v9, v13
	;; [unrolled: 1-line block ×3, first 2 shown]
	v_ffbh_u32_e32 v11, v10
	v_min_u32_e32 v11, 32, v11
	v_lshrrev_b32_e32 v17, 29, v8
	v_sub_u32_e32 v13, 31, v11
	v_alignbit_b32 v9, v10, v9, v13
	v_lshlrev_b32_e32 v10, 31, v17
	v_or_b32_e32 v13, 0x33800000, v10
	v_add_lshl_u32 v11, v11, v12, 23
	v_lshrrev_b32_e32 v9, 9, v9
	v_sub_u32_e32 v11, v13, v11
	v_or_b32_e32 v9, v11, v9
	v_alignbit_b32 v11, v12, v14, 9
	v_or_b32_e32 v10, v11, v10
	v_xor_b32_e32 v10, 1.0, v10
	s_mov_b32 s0, 0x3fc90fda
	v_mul_f32_e32 v11, 0x3fc90fda, v10
	v_fma_f32 v12, v10, s0, -v11
	v_fmac_f32_e32 v12, 0x33a22168, v10
	v_fmac_f32_e32 v12, 0x3fc90fda, v9
	v_lshrrev_b32_e32 v8, 30, v8
	v_add_f32_e32 v9, v11, v12
	v_add_u32_e32 v8, v18, v8
	s_andn2_saveexec_b64 s[0:1], s[14:15]
	s_cbranch_execnz .LBB21_1035
	s_branch .LBB21_1036
.LBB21_1034:
	s_andn2_saveexec_b64 s[0:1], s[14:15]
.LBB21_1035:
	s_mov_b32 s2, 0x3f22f983
	v_mul_f32_e64 v8, |v2|, s2
	v_rndne_f32_e32 v10, v8
	s_mov_b32 s2, 0xbfc90fda
	v_cvt_i32_f32_e32 v8, v10
	v_fma_f32 v9, v10, s2, |v2|
	v_fmac_f32_e32 v9, 0xb3a22168, v10
	v_fmac_f32_e32 v9, 0xa7c234c4, v10
.LBB21_1036:
	s_or_b64 exec, exec, s[0:1]
	s_mov_b32 s2, 0x41c80000
	v_div_scale_f32 v10, s[0:1], v4, v4, s2
	v_rcp_f32_e32 v11, v10
	v_div_scale_f32 v12, vcc, s2, v4, s2
	v_mov_b32_e32 v18, 0xbf000004
	v_fma_f32 v13, -v10, v11, 1.0
	v_fmac_f32_e32 v11, v13, v11
	v_mul_f32_e32 v13, v12, v11
	v_fma_f32 v14, -v10, v13, v12
	v_fmac_f32_e32 v13, v14, v11
	v_fma_f32 v10, -v10, v13, v12
	v_div_fmas_f32 v10, v10, v11, v13
	v_div_fixup_f32 v4, v10, v4, s2
	v_mov_b32_e32 v10, 0x3a50e985
	v_fmac_f32_e32 v10, 0, v4
	v_mov_b32_e32 v11, 0x3da9a586
	v_fmac_f32_e32 v11, v4, v10
	;; [unrolled: 2-line block ×12, first 2 shown]
	v_fma_f32 v10, v4, v12, 1.0
	v_mov_b32_e32 v12, 0xbc3a3a12
	v_fmac_f32_e32 v12, 0, v4
	v_mov_b32_e32 v13, 0xbfa429da
	v_fmac_f32_e32 v13, v4, v12
	;; [unrolled: 2-line block ×9, first 2 shown]
	v_mov_b32_e32 v14, 0x44561b86
	v_fma_f32 v11, v4, v11, 1.0
	v_fmac_f32_e32 v14, v4, v12
	v_mov_b32_e32 v12, 0x4572a66e
	v_div_scale_f32 v15, s[0:1], v10, v10, v11
	v_fmac_f32_e32 v12, v4, v14
	v_mov_b32_e32 v14, 0x45e243be
	v_rcp_f32_e32 v16, v15
	v_fmac_f32_e32 v14, v4, v12
	v_mov_b32_e32 v12, 0x45b955d1
	v_fmac_f32_e32 v12, v4, v14
	v_mov_b32_e32 v14, 0x4500e17e
	;; [unrolled: 2-line block ×3, first 2 shown]
	v_fmac_f32_e32 v12, v4, v14
	v_fma_f32 v4, -v15, v16, 1.0
	v_fmac_f32_e32 v16, v4, v16
	v_div_scale_f32 v4, vcc, v11, v10, v11
	v_mul_f32_e32 v14, v4, v16
	v_fma_f32 v17, -v15, v14, v4
	v_fmac_f32_e32 v14, v17, v16
	v_fma_f32 v4, -v15, v14, v4
	v_div_fmas_f32 v4, v4, v16, v14
	v_div_fixup_f32 v4, v4, v10, v11
	v_mul_f32_e32 v10, v7, v7
	v_mov_b32_e32 v16, 0xbab64f3b
	v_mov_b32_e32 v14, 0x3c0881c4
	v_fmac_f32_e32 v16, 0x37d75334, v10
	v_mov_b32_e32 v17, 0x3d2aabf7
	v_fmac_f32_e32 v14, 0xb94c1982, v10
	v_mov_b32_e32 v15, 0xbe2aaa9d
	v_fma_f32 v16, v10, v16, v17
	v_fma_f32 v14, v10, v14, v15
	;; [unrolled: 1-line block ×3, first 2 shown]
	v_mul_f32_e32 v14, v10, v14
	v_fma_f32 v10, v10, v16, 1.0
	v_and_b32_e32 v16, 1, v5
	v_fmac_f32_e32 v7, v7, v14
	v_cmp_eq_u32_e32 vcc, 0, v16
	v_lshlrev_b32_e32 v5, 30, v5
	v_cndmask_b32_e64 v7, -v7, v10, vcc
	v_and_b32_e32 v5, 0x80000000, v5
	s_mov_b32 s6, 0xc0a00000
	v_xor_b32_e32 v5, v5, v7
	v_div_scale_f32 v7, s[0:1], v1, v1, s6
	v_rcp_f32_e32 v10, v7
	s_movk_i32 s2, 0x1f8
	v_cmp_class_f32_e64 s[0:1], v2, s2
	v_mov_b32_e32 v11, 0x3c0881c4
	v_fma_f32 v19, -v7, v10, 1.0
	v_fmac_f32_e32 v10, v19, v10
	v_div_scale_f32 v19, vcc, s6, v1, s6
	v_mul_f32_e32 v20, v19, v10
	v_fma_f32 v21, -v7, v20, v19
	v_fmac_f32_e32 v20, v21, v10
	v_fma_f32 v7, -v7, v20, v19
	v_div_scale_f32 v19, s[2:3], v12, v12, v13
	v_rcp_f32_e32 v21, v19
	v_div_fmas_f32 v7, v7, v10, v20
	v_div_fixup_f32 v7, v7, v1, s6
	v_mov_b32_e32 v14, 0xbab64f3b
	v_fma_f32 v10, -v19, v21, 1.0
	v_fmac_f32_e32 v21, v10, v21
	v_div_scale_f32 v10, vcc, v13, v12, v13
	v_mul_f32_e32 v20, v10, v21
	v_fma_f32 v22, -v19, v20, v10
	v_fmac_f32_e32 v20, v22, v21
	v_fma_f32 v10, -v19, v20, v10
	v_div_fmas_f32 v10, v10, v21, v20
	v_div_fixup_f32 v10, v10, v12, v13
	v_mul_f32_e32 v7, v7, v10
	v_mul_f32_e32 v10, v9, v9
	v_fmac_f32_e32 v11, 0xb94c1982, v10
	v_fmac_f32_e32 v15, v10, v11
	;; [unrolled: 1-line block ×3, first 2 shown]
	v_mul_f32_e32 v11, v10, v15
	v_fmac_f32_e32 v17, v10, v14
	v_fmac_f32_e32 v9, v9, v11
	;; [unrolled: 1-line block ×3, first 2 shown]
	v_and_b32_e32 v11, 1, v8
	v_lshlrev_b32_e32 v8, 30, v8
	v_fma_f32 v10, v10, v18, 1.0
	v_cmp_eq_u32_e32 vcc, 0, v11
	v_and_b32_e32 v8, 0x80000000, v8
	v_xor_b32_e32 v2, v3, v2
	v_cndmask_b32_e32 v9, v10, v9, vcc
	v_xor_b32_e32 v2, v2, v8
	v_mov_b32_e32 v16, 0x7fc00000
	v_xor_b32_e32 v2, v2, v9
	v_cndmask_b32_e64 v5, v16, v5, s[0:1]
	v_cndmask_b32_e64 v2, v16, v2, s[0:1]
	s_mov_b32 s0, 0xf800000
	v_mul_f32_e32 v3, 0x4f800000, v1
	v_cmp_gt_f32_e32 vcc, s0, v1
	v_cndmask_b32_e32 v1, v1, v3, vcc
	v_sqrt_f32_e32 v3, v1
	v_mul_f32_e32 v2, v7, v2
	v_fmac_f32_e32 v2, v4, v5
	v_mul_f32_e32 v2, 0x3f4c422a, v2
	v_add_u32_e32 v4, -1, v3
	v_fma_f32 v5, -v4, v3, v1
	v_cmp_ge_f32_e64 s[0:1], 0, v5
	v_add_u32_e32 v5, 1, v3
	v_cndmask_b32_e64 v4, v3, v4, s[0:1]
	v_fma_f32 v3, -v5, v3, v1
	v_cmp_lt_f32_e64 s[0:1], 0, v3
	v_cndmask_b32_e64 v3, v4, v5, s[0:1]
	v_mul_f32_e32 v4, 0x37800000, v3
	v_cndmask_b32_e32 v3, v3, v4, vcc
	v_mov_b32_e32 v4, 0x260
	v_cmp_class_f32_e32 vcc, v1, v4
	v_cndmask_b32_e32 v1, v3, v1, vcc
	v_div_scale_f32 v3, s[0:1], v1, v1, v2
	v_rcp_f32_e32 v4, v3
	v_fma_f32 v5, -v3, v4, 1.0
	v_fmac_f32_e32 v4, v5, v4
	v_div_scale_f32 v5, vcc, v2, v1, v2
	v_mul_f32_e32 v7, v5, v4
	v_fma_f32 v8, -v3, v7, v5
	v_fmac_f32_e32 v7, v8, v4
	v_fma_f32 v3, -v3, v7, v5
	v_div_fmas_f32 v3, v3, v4, v7
	v_div_fixup_f32 v2, v3, v1, v2
.LBB21_1037:
	s_or_b64 exec, exec, s[12:13]
	s_waitcnt lgkmcnt(0)
	v_mov_b32_e32 v1, s25
	v_add_co_u32_e32 v4, vcc, s24, v0
	v_addc_co_u32_e32 v5, vcc, 0, v1, vcc
	v_and_b32_e32 v1, 0xff, v6
	v_cmp_gt_i16_e32 vcc, 11, v1
	s_cbranch_vccnz .LBB21_1054
; %bb.1038:
	v_cmp_lt_i16_e32 vcc, 25, v1
	s_mov_b64 s[6:7], -1
	s_mov_b64 s[0:1], s[54:55]
	s_cbranch_vccz .LBB21_1072
; %bb.1039:
	v_cmp_lt_i16_e32 vcc, 28, v1
	s_mov_b64 s[2:3], -1
	s_mov_b64 s[0:1], s[54:55]
	s_cbranch_vccz .LBB21_1056
; %bb.1040:
	v_cmp_lt_i16_e32 vcc, 43, v1
	s_mov_b64 s[0:1], s[54:55]
	s_cbranch_vccz .LBB21_1051
; %bb.1041:
	v_cmp_lt_i16_e32 vcc, 45, v1
	s_mov_b64 s[0:1], s[54:55]
	s_cbranch_vccz .LBB21_1045
; %bb.1042:
	v_cmp_eq_u16_e32 vcc, 46, v1
	s_mov_b64 s[0:1], -1
	s_cbranch_vccz .LBB21_1044
; %bb.1043:
	v_bfe_u32 v0, v2, 16, 1
	s_movk_i32 s0, 0x7fff
	v_add3_u32 v0, v2, v0, s0
	v_lshrrev_b32_e32 v0, 16, v0
	v_mov_b32_e32 v3, 0x7fc0
	v_cmp_o_f32_e32 vcc, v2, v2
	v_cndmask_b32_e32 v0, v3, v0, vcc
	global_store_dword v[4:5], v0, off
	s_mov_b64 s[0:1], 0
.LBB21_1044:
	s_mov_b64 s[2:3], 0
.LBB21_1045:
	s_and_b64 vcc, exec, s[2:3]
	s_cbranch_vccz .LBB21_1050
; %bb.1046:
	v_cmp_eq_u16_e32 vcc, 44, v1
	s_mov_b64 s[0:1], -1
	s_cbranch_vccz .LBB21_1050
; %bb.1047:
	v_bfe_u32 v0, v2, 23, 8
	s_movk_i32 s0, 0xff
	v_cmp_ne_u32_e32 vcc, s0, v0
	v_mov_b32_e32 v3, 0xff
	s_and_saveexec_b64 s[2:3], vcc
; %bb.1048:
	s_mov_b32 s0, 0x3fffff
	v_and_b32_e32 v6, 0x400000, v2
	v_and_or_b32 v0, v2, s0, v0
	v_cmp_ne_u32_e32 vcc, 0, v6
	v_cmp_ne_u32_e64 s[0:1], 0, v0
	s_and_b64 s[0:1], vcc, s[0:1]
	v_lshrrev_b32_e32 v3, 23, v2
	v_cndmask_b32_e64 v0, 0, 1, s[0:1]
	v_add_u32_e32 v3, v3, v0
; %bb.1049:
	s_or_b64 exec, exec, s[2:3]
	s_mov_b64 s[0:1], 0
	global_store_byte v[4:5], v3, off
.LBB21_1050:
	s_mov_b64 s[2:3], 0
.LBB21_1051:
	s_and_b64 vcc, exec, s[2:3]
	s_cbranch_vccz .LBB21_1055
; %bb.1052:
	v_cmp_eq_u16_e32 vcc, 29, v1
	s_mov_b64 s[0:1], -1
	s_cbranch_vccz .LBB21_1055
; %bb.1053:
	v_trunc_f32_e32 v0, v2
	v_mul_f32_e32 v3, 0x2f800000, v0
	v_floor_f32_e32 v3, v3
	v_fmac_f32_e32 v0, 0xcf800000, v3
	v_cvt_u32_f32_e32 v7, v3
	v_cvt_u32_f32_e32 v6, v0
	s_mov_b64 s[0:1], 0
	s_mov_b64 s[2:3], 0
	global_store_dwordx2 v[4:5], v[6:7], off
	s_branch .LBB21_1056
.LBB21_1054:
	s_mov_b64 s[6:7], 0
	s_mov_b64 s[2:3], -1
	s_mov_b64 s[0:1], s[54:55]
	s_branch .LBB21_1113
.LBB21_1055:
	s_mov_b64 s[2:3], 0
.LBB21_1056:
	s_and_b64 vcc, exec, s[2:3]
	s_cbranch_vccz .LBB21_1071
; %bb.1057:
	v_cmp_gt_i16_e32 vcc, 27, v1
	s_mov_b64 s[2:3], -1
	s_cbranch_vccnz .LBB21_1063
; %bb.1058:
	v_cmp_lt_i16_e32 vcc, 27, v1
	s_cbranch_vccz .LBB21_1060
; %bb.1059:
	v_cvt_u32_f32_e32 v0, v2
	s_mov_b64 s[2:3], 0
	global_store_dword v[4:5], v0, off
.LBB21_1060:
	s_andn2_b64 vcc, exec, s[2:3]
	s_cbranch_vccnz .LBB21_1062
; %bb.1061:
	v_cvt_u32_f32_e32 v0, v2
	global_store_short v[4:5], v0, off
.LBB21_1062:
	s_mov_b64 s[2:3], 0
.LBB21_1063:
	s_andn2_b64 vcc, exec, s[2:3]
	s_cbranch_vccnz .LBB21_1071
; %bb.1064:
	v_and_b32_e32 v0, 0x7fffffff, v2
	s_mov_b32 s2, 0x43800000
	v_cmp_gt_u32_e32 vcc, s2, v0
	v_mov_b32_e32 v3, 0x80
	s_and_saveexec_b64 s[2:3], vcc
	s_cbranch_execz .LBB21_1070
; %bb.1065:
	s_mov_b32 s6, 0x3bffffff
	v_cmp_lt_u32_e32 vcc, s6, v0
	s_mov_b64 s[6:7], 0
                                        ; implicit-def: $vgpr0
	s_and_saveexec_b64 s[12:13], vcc
	s_xor_b64 s[12:13], exec, s[12:13]
	s_cbranch_execz .LBB21_1224
; %bb.1066:
	v_bfe_u32 v0, v2, 20, 1
	s_mov_b32 s14, 0x487ffff
	v_add3_u32 v0, v2, v0, s14
	s_mov_b64 s[6:7], exec
	v_lshrrev_b32_e32 v0, 20, v0
	s_or_saveexec_b64 s[12:13], s[12:13]
                                        ; implicit-def: $sgpr14
	s_xor_b64 exec, exec, s[12:13]
	s_cbranch_execnz .LBB21_1225
.LBB21_1067:
	s_or_b64 exec, exec, s[12:13]
	v_mov_b32_e32 v3, s14
	s_and_saveexec_b64 s[12:13], s[6:7]
.LBB21_1068:
	v_lshrrev_b32_e32 v3, 24, v2
	s_movk_i32 s6, 0x80
	v_and_or_b32 v3, v3, s6, v0
.LBB21_1069:
	s_or_b64 exec, exec, s[12:13]
.LBB21_1070:
	s_or_b64 exec, exec, s[2:3]
	global_store_byte v[4:5], v3, off
.LBB21_1071:
	s_mov_b64 s[6:7], 0
.LBB21_1072:
	s_mov_b64 s[2:3], 0
	s_and_b64 vcc, exec, s[6:7]
	s_cbranch_vccz .LBB21_1112
; %bb.1073:
	v_cmp_lt_i16_e32 vcc, 22, v1
	s_mov_b64 s[6:7], -1
	s_cbranch_vccz .LBB21_1105
; %bb.1074:
	v_cmp_gt_i16_e32 vcc, 24, v1
	s_cbranch_vccnz .LBB21_1094
; %bb.1075:
	v_cmp_lt_i16_e32 vcc, 24, v1
	s_cbranch_vccz .LBB21_1083
; %bb.1076:
	v_and_b32_e32 v0, 0x7fffffff, v2
	s_mov_b32 s6, 0x47800000
	v_cmp_gt_u32_e32 vcc, s6, v0
	v_mov_b32_e32 v3, 0x80
	s_and_saveexec_b64 s[6:7], vcc
	s_cbranch_execz .LBB21_1082
; %bb.1077:
	s_mov_b32 s12, 0x37ffffff
	v_cmp_lt_u32_e32 vcc, s12, v0
	s_mov_b64 s[12:13], 0
                                        ; implicit-def: $vgpr0
	s_and_saveexec_b64 s[14:15], vcc
	s_xor_b64 s[14:15], exec, s[14:15]
	s_cbranch_execz .LBB21_1365
; %bb.1078:
	v_bfe_u32 v0, v2, 21, 1
	s_mov_b32 s16, 0x88fffff
	v_add3_u32 v0, v2, v0, s16
	s_mov_b64 s[12:13], exec
	v_lshrrev_b32_e32 v0, 21, v0
	s_or_saveexec_b64 s[14:15], s[14:15]
                                        ; implicit-def: $sgpr16
	s_xor_b64 exec, exec, s[14:15]
	s_cbranch_execnz .LBB21_1366
.LBB21_1079:
	s_or_b64 exec, exec, s[14:15]
	v_mov_b32_e32 v3, s16
	s_and_saveexec_b64 s[14:15], s[12:13]
.LBB21_1080:
	v_lshrrev_b32_e32 v3, 24, v2
	s_movk_i32 s12, 0x80
	v_and_or_b32 v3, v3, s12, v0
.LBB21_1081:
	s_or_b64 exec, exec, s[14:15]
.LBB21_1082:
	s_or_b64 exec, exec, s[6:7]
	s_mov_b64 s[6:7], 0
	global_store_byte v[4:5], v3, off
.LBB21_1083:
	s_and_b64 vcc, exec, s[6:7]
	s_cbranch_vccz .LBB21_1093
; %bb.1084:
	v_and_b32_e32 v3, 0x7fffffff, v2
	s_mov_b32 s6, 0x43f00000
	v_cmp_gt_u32_e32 vcc, s6, v3
                                        ; implicit-def: $vgpr0
	s_and_saveexec_b64 s[6:7], vcc
	s_xor_b64 s[6:7], exec, s[6:7]
	s_cbranch_execz .LBB21_1090
; %bb.1085:
	s_mov_b32 s12, 0x3c7fffff
	v_cmp_lt_u32_e32 vcc, s12, v3
                                        ; implicit-def: $vgpr0
	s_and_saveexec_b64 s[12:13], vcc
	s_xor_b64 s[12:13], exec, s[12:13]
; %bb.1086:
	v_bfe_u32 v0, v2, 20, 1
	s_mov_b32 s14, 0x407ffff
	v_add3_u32 v0, v2, v0, s14
	v_lshrrev_b32_e32 v3, 20, v0
	v_and_b32_e32 v0, 0xff00000, v0
	s_mov_b32 s14, 0x7f00000
	v_mov_b32_e32 v6, 0x7e
	v_cmp_ne_u32_e32 vcc, s14, v0
	v_cndmask_b32_e32 v0, v6, v3, vcc
; %bb.1087:
	s_andn2_saveexec_b64 s[12:13], s[12:13]
; %bb.1088:
	s_mov_b32 s14, 0x46800000
	v_add_f32_e64 v0, |v2|, s14
; %bb.1089:
	s_or_b64 exec, exec, s[12:13]
                                        ; implicit-def: $vgpr3
.LBB21_1090:
	s_andn2_saveexec_b64 s[6:7], s[6:7]
; %bb.1091:
	s_mov_b32 s12, 0x7f800000
	v_mov_b32_e32 v0, 0x7e
	v_mov_b32_e32 v6, 0x7f
	v_cmp_lt_u32_e32 vcc, s12, v3
	v_cndmask_b32_e32 v0, v0, v6, vcc
; %bb.1092:
	s_or_b64 exec, exec, s[6:7]
	v_lshrrev_b32_e32 v3, 24, v2
	s_movk_i32 s6, 0x80
	v_and_or_b32 v0, v3, s6, v0
	global_store_byte v[4:5], v0, off
.LBB21_1093:
	s_mov_b64 s[6:7], 0
.LBB21_1094:
	s_andn2_b64 vcc, exec, s[6:7]
	s_cbranch_vccnz .LBB21_1104
; %bb.1095:
	v_and_b32_e32 v3, 0x7fffffff, v2
	s_mov_b32 s6, 0x47800000
	v_cmp_gt_u32_e32 vcc, s6, v3
                                        ; implicit-def: $vgpr0
	s_and_saveexec_b64 s[6:7], vcc
	s_xor_b64 s[6:7], exec, s[6:7]
	s_cbranch_execz .LBB21_1101
; %bb.1096:
	s_mov_b32 s12, 0x387fffff
	v_cmp_lt_u32_e32 vcc, s12, v3
                                        ; implicit-def: $vgpr0
	s_and_saveexec_b64 s[12:13], vcc
	s_xor_b64 s[12:13], exec, s[12:13]
; %bb.1097:
	v_bfe_u32 v0, v2, 21, 1
	s_mov_b32 s14, 0x80fffff
	v_add3_u32 v0, v2, v0, s14
	v_lshrrev_b32_e32 v0, 21, v0
; %bb.1098:
	s_andn2_saveexec_b64 s[12:13], s[12:13]
; %bb.1099:
	s_mov_b32 s14, 0x43000000
	v_add_f32_e64 v0, |v2|, s14
; %bb.1100:
	s_or_b64 exec, exec, s[12:13]
                                        ; implicit-def: $vgpr3
.LBB21_1101:
	s_andn2_saveexec_b64 s[6:7], s[6:7]
; %bb.1102:
	s_mov_b32 s12, 0x7f800000
	v_mov_b32_e32 v0, 0x7c
	v_mov_b32_e32 v6, 0x7f
	v_cmp_lt_u32_e32 vcc, s12, v3
	v_cndmask_b32_e32 v0, v0, v6, vcc
; %bb.1103:
	s_or_b64 exec, exec, s[6:7]
	v_lshrrev_b32_e32 v3, 24, v2
	s_movk_i32 s6, 0x80
	v_and_or_b32 v0, v3, s6, v0
	global_store_byte v[4:5], v0, off
.LBB21_1104:
	s_mov_b64 s[6:7], 0
.LBB21_1105:
	s_andn2_b64 vcc, exec, s[6:7]
	s_mov_b64 s[6:7], 0
	s_cbranch_vccnz .LBB21_1113
; %bb.1106:
	v_cmp_lt_i16_e32 vcc, 14, v1
	s_mov_b64 s[12:13], -1
	s_cbranch_vccz .LBB21_1110
; %bb.1107:
	v_cmp_eq_u16_e32 vcc, 15, v1
	s_mov_b64 s[0:1], -1
	s_cbranch_vccz .LBB21_1109
; %bb.1108:
	v_bfe_u32 v0, v2, 16, 1
	s_movk_i32 s0, 0x7fff
	v_add3_u32 v0, v2, v0, s0
	v_lshrrev_b32_e32 v0, 16, v0
	v_mov_b32_e32 v3, 0x7fc0
	v_cmp_o_f32_e32 vcc, v2, v2
	v_cndmask_b32_e32 v0, v3, v0, vcc
	global_store_short v[4:5], v0, off
	s_mov_b64 s[0:1], 0
.LBB21_1109:
	s_mov_b64 s[12:13], 0
.LBB21_1110:
	s_and_b64 vcc, exec, s[12:13]
	s_cbranch_vccz .LBB21_1113
; %bb.1111:
	v_cmp_ne_u16_e32 vcc, 11, v1
	s_andn2_b64 s[0:1], s[0:1], exec
	s_and_b64 s[12:13], vcc, exec
	s_mov_b64 s[6:7], -1
	s_or_b64 s[0:1], s[0:1], s[12:13]
	s_branch .LBB21_1113
.LBB21_1112:
	s_mov_b64 s[6:7], 0
.LBB21_1113:
	s_andn2_b64 s[12:13], s[54:55], exec
	s_and_b64 s[0:1], s[0:1], exec
	s_and_b64 s[2:3], s[2:3], exec
	;; [unrolled: 1-line block ×3, first 2 shown]
	s_or_b64 s[54:55], s[12:13], s[0:1]
	s_or_b64 exec, exec, s[10:11]
	s_and_saveexec_b64 s[0:1], s[54:55]
	s_cbranch_execz .LBB21_1028
.LBB21_1114:
	s_or_b64 s[8:9], s[8:9], exec
	s_andn2_b64 s[6:7], s[6:7], exec
	s_trap 2
	s_or_b64 exec, exec, s[0:1]
	s_and_saveexec_b64 s[0:1], s[6:7]
	s_xor_b64 s[0:1], exec, s[0:1]
	s_cbranch_execnz .LBB21_1029
.LBB21_1115:
	s_or_b64 exec, exec, s[0:1]
	s_and_saveexec_b64 s[0:1], s[2:3]
	s_xor_b64 s[0:1], exec, s[0:1]
	s_cbranch_execz .LBB21_1153
.LBB21_1116:
	s_waitcnt vmcnt(0)
	v_cmp_gt_i16_e32 vcc, 5, v1
	s_mov_b64 s[2:3], -1
	s_cbranch_vccnz .LBB21_1137
; %bb.1117:
	v_cmp_gt_i16_e32 vcc, 8, v1
	s_cbranch_vccnz .LBB21_1127
; %bb.1118:
	v_cmp_gt_i16_e32 vcc, 9, v1
	s_cbranch_vccnz .LBB21_1124
; %bb.1119:
	v_cmp_lt_i16_e32 vcc, 9, v1
	s_cbranch_vccz .LBB21_1121
; %bb.1120:
	v_mov_b32_e32 v8, 0
	v_cvt_f64_f32_e32 v[6:7], v2
	v_mov_b32_e32 v9, v8
	s_mov_b64 s[2:3], 0
	global_store_dwordx4 v[4:5], v[6:9], off
.LBB21_1121:
	s_andn2_b64 vcc, exec, s[2:3]
	s_cbranch_vccnz .LBB21_1123
; %bb.1122:
	v_mov_b32_e32 v3, 0
	global_store_dwordx2 v[4:5], v[2:3], off
.LBB21_1123:
	s_mov_b64 s[2:3], 0
.LBB21_1124:
	s_andn2_b64 vcc, exec, s[2:3]
	s_cbranch_vccnz .LBB21_1126
; %bb.1125:
	v_cvt_f16_f32_e32 v0, v2
	global_store_dword v[4:5], v0, off
.LBB21_1126:
	s_mov_b64 s[2:3], 0
.LBB21_1127:
	s_andn2_b64 vcc, exec, s[2:3]
	s_cbranch_vccnz .LBB21_1136
; %bb.1128:
	v_cmp_gt_i16_e32 vcc, 6, v1
	s_mov_b64 s[2:3], -1
	s_cbranch_vccnz .LBB21_1134
; %bb.1129:
	v_cmp_lt_i16_e32 vcc, 6, v1
	s_cbranch_vccz .LBB21_1131
; %bb.1130:
	v_cvt_f64_f32_e32 v[6:7], v2
	s_mov_b64 s[2:3], 0
	global_store_dwordx2 v[4:5], v[6:7], off
.LBB21_1131:
	s_andn2_b64 vcc, exec, s[2:3]
	s_cbranch_vccnz .LBB21_1133
; %bb.1132:
	global_store_dword v[4:5], v2, off
.LBB21_1133:
	s_mov_b64 s[2:3], 0
.LBB21_1134:
	s_andn2_b64 vcc, exec, s[2:3]
	s_cbranch_vccnz .LBB21_1136
; %bb.1135:
	v_cvt_f16_f32_e32 v0, v2
	global_store_short v[4:5], v0, off
.LBB21_1136:
	s_mov_b64 s[2:3], 0
.LBB21_1137:
	s_andn2_b64 vcc, exec, s[2:3]
	s_cbranch_vccnz .LBB21_1153
; %bb.1138:
	v_cmp_gt_i16_e32 vcc, 2, v1
	s_mov_b64 s[2:3], -1
	s_cbranch_vccnz .LBB21_1148
; %bb.1139:
	v_cmp_gt_i16_e32 vcc, 3, v1
	s_cbranch_vccnz .LBB21_1145
; %bb.1140:
	v_cmp_lt_i16_e32 vcc, 3, v1
	s_cbranch_vccz .LBB21_1142
; %bb.1141:
	v_trunc_f32_e32 v0, v2
	s_mov_b32 s2, 0x2f800000
	v_mul_f32_e64 v3, |v0|, s2
	v_floor_f32_e32 v3, v3
	s_mov_b32 s2, 0xcf800000
	v_cvt_u32_f32_e32 v6, v3
	v_fma_f32 v3, v3, s2, |v0|
	v_cvt_u32_f32_e32 v3, v3
	v_ashrrev_i32_e32 v0, 31, v0
	v_xor_b32_e32 v7, v6, v0
	s_mov_b64 s[2:3], 0
	v_xor_b32_e32 v3, v3, v0
	v_sub_co_u32_e32 v6, vcc, v3, v0
	v_subb_co_u32_e32 v7, vcc, v7, v0, vcc
	global_store_dwordx2 v[4:5], v[6:7], off
.LBB21_1142:
	s_andn2_b64 vcc, exec, s[2:3]
	s_cbranch_vccnz .LBB21_1144
; %bb.1143:
	v_cvt_i32_f32_e32 v0, v2
	global_store_dword v[4:5], v0, off
.LBB21_1144:
	s_mov_b64 s[2:3], 0
.LBB21_1145:
	s_andn2_b64 vcc, exec, s[2:3]
	s_cbranch_vccnz .LBB21_1147
; %bb.1146:
	v_cvt_i32_f32_e32 v0, v2
	global_store_short v[4:5], v0, off
.LBB21_1147:
	s_mov_b64 s[2:3], 0
.LBB21_1148:
	s_andn2_b64 vcc, exec, s[2:3]
	s_cbranch_vccnz .LBB21_1153
; %bb.1149:
	v_cmp_lt_i16_e32 vcc, 0, v1
	s_mov_b64 s[2:3], -1
	s_cbranch_vccz .LBB21_1151
; %bb.1150:
	v_cvt_i32_f32_e32 v0, v2
	s_mov_b64 s[2:3], 0
	global_store_byte v[4:5], v0, off
.LBB21_1151:
	s_andn2_b64 vcc, exec, s[2:3]
	s_cbranch_vccnz .LBB21_1153
; %bb.1152:
	v_trunc_f32_e32 v0, v2
	s_mov_b32 s2, 0x2f800000
	v_mul_f32_e64 v1, |v0|, s2
	v_floor_f32_e32 v1, v1
	s_mov_b32 s2, 0xcf800000
	v_fma_f32 v1, v1, s2, |v0|
	v_cvt_u32_f32_e32 v1, v1
	v_ashrrev_i32_e32 v0, 31, v0
	v_xor_b32_e32 v1, v1, v0
	v_sub_u32_e32 v0, v1, v0
	global_store_byte v[4:5], v0, off
.LBB21_1153:
	s_or_b64 exec, exec, s[0:1]
	s_and_b64 s[6:7], s[8:9], exec
                                        ; implicit-def: $vgpr16
                                        ; implicit-def: $vgpr13
.LBB21_1154:
	s_waitcnt lgkmcnt(0)
	s_or_saveexec_b64 s[28:29], s[44:45]
	s_mov_b64 s[0:1], 0
                                        ; implicit-def: $vgpr0_vgpr1
                                        ; implicit-def: $vgpr2
                                        ; implicit-def: $vgpr12
	s_xor_b64 exec, exec, s[28:29]
	s_cbranch_execz .LBB21_1783
; %bb.1155:
	v_cndmask_b32_e64 v0, 0, 1, s[42:43]
	v_cmp_ne_u32_e64 s[0:1], 1, v0
	s_andn2_b64 vcc, exec, s[42:43]
	s_cbranch_vccnz .LBB21_1162
; %bb.1156:
	s_mov_b32 s2, 0
	s_cmp_lg_u32 s33, 0
	v_mov_b32_e32 v8, 0
	v_mov_b32_e32 v6, 0
	s_cbranch_scc0 .LBB21_1161
; %bb.1157:
	s_min_u32 s38, s74, 15
	s_add_i32 s38, s38, 1
	s_cmp_eq_u32 s74, 2
	s_cbranch_scc1 .LBB21_1163
; %bb.1158:
	s_add_u32 s30, s34, 0xc4
	s_addc_u32 s31, s35, 0
	s_and_b32 s2, s38, 28
	s_mov_b32 s3, 0
	v_mov_b32_e32 v6, 0
	s_mov_b64 s[36:37], s[34:35]
	v_mov_b32_e32 v0, v13
	v_mov_b32_e32 v8, 0
.LBB21_1159:                            ; =>This Inner Loop Header: Depth=1
	s_load_dwordx8 s[16:23], s[36:37], 0x4
	s_load_dwordx4 s[24:27], s[36:37], 0x24
	s_load_dwordx8 s[8:15], s[30:31], 0x0
	s_add_u32 s36, s36, 48
	s_addc_u32 s37, s37, 0
	s_waitcnt vmcnt(0) lgkmcnt(0)
	v_mul_hi_u32 v1, s17, v0
	v_add_u32_e32 v1, v0, v1
	v_lshrrev_b32_e32 v1, s18, v1
	v_mul_lo_u32 v2, v1, s16
	v_mul_hi_u32 v3, s20, v1
	v_sub_u32_e32 v0, v0, v2
	v_add_u32_e32 v2, v1, v3
	v_lshrrev_b32_e32 v2, s21, v2
	v_mul_lo_u32 v4, v2, s19
	v_mul_hi_u32 v5, s23, v2
	v_sub_u32_e32 v1, v1, v4
	v_add_u32_e32 v4, v2, v5
	v_mul_lo_u32 v3, v0, s9
	v_mul_lo_u32 v0, v0, s8
	v_mul_lo_u32 v5, v1, s11
	v_mul_lo_u32 v1, v1, s10
	v_lshrrev_b32_e32 v4, s24, v4
	v_add3_u32 v1, v0, v6, v1
	v_add3_u32 v3, v3, v8, v5
	v_mul_lo_u32 v0, v4, s22
	v_mul_hi_u32 v5, s26, v4
	v_sub_u32_e32 v0, v2, v0
	v_add_u32_e32 v2, v4, v5
	v_mul_lo_u32 v5, v0, s12
	v_mul_lo_u32 v6, v0, s13
	v_lshrrev_b32_e32 v0, s27, v2
	s_add_i32 s3, s3, 4
	v_mul_lo_u32 v2, v0, s25
	s_add_u32 s30, s30, 32
	v_sub_u32_e32 v2, v4, v2
	s_addc_u32 s31, s31, 0
	v_mul_lo_u32 v4, v2, s14
	v_mul_lo_u32 v2, v2, s15
	s_cmp_lg_u32 s2, s3
	v_add3_u32 v8, v6, v3, v2
	v_add3_u32 v6, v5, v1, v4
	s_cbranch_scc1 .LBB21_1159
; %bb.1160:
	v_mov_b32_e32 v7, v8
	s_and_b32 s10, s38, 3
	s_cmp_eq_u32 s10, 0
	s_cbranch_scc0 .LBB21_1164
.LBB21_1161:
	s_cbranch_execz .LBB21_1167
	s_branch .LBB21_1169
.LBB21_1162:
                                        ; implicit-def: $vgpr8
                                        ; implicit-def: $vgpr6
	s_branch .LBB21_1167
.LBB21_1163:
	s_mov_b32 s3, s2
	s_waitcnt vmcnt(0)
	v_pk_mov_b32 v[6:7], s[2:3], s[2:3] op_sel:[0,1]
                                        ; implicit-def: $vgpr8
	v_mov_b32_e32 v0, v13
	s_and_b32 s10, s38, 3
	s_cmp_eq_u32 s10, 0
	s_cbranch_scc1 .LBB21_1161
.LBB21_1164:
	s_lshl_b32 s3, s2, 3
	s_add_u32 s3, s3, s34
	s_addc_u32 s9, 0, s35
	s_add_u32 s8, s3, 0xc4
	s_addc_u32 s9, s9, 0
	s_mul_i32 s2, s2, 12
	s_add_u32 s2, s34, s2
	s_addc_u32 s3, 0, s35
.LBB21_1165:                            ; =>This Inner Loop Header: Depth=1
	s_load_dwordx2 s[12:13], s[2:3], 0x4
	s_load_dword s11, s[2:3], 0xc
	s_load_dwordx2 s[14:15], s[8:9], 0x0
	s_add_u32 s2, s2, 12
	s_addc_u32 s3, s3, 0
	s_waitcnt lgkmcnt(0)
	v_mul_hi_u32 v1, s13, v0
	v_add_u32_e32 v1, v0, v1
	v_lshrrev_b32_e32 v1, s11, v1
	v_mul_lo_u32 v3, v1, s12
	v_mov_b32_e32 v2, v7
	s_add_u32 s8, s8, 8
	v_sub_u32_e32 v4, v0, v3
	s_addc_u32 s9, s9, 0
	s_add_i32 s10, s10, -1
	v_mad_u64_u32 v[2:3], s[12:13], v4, s15, v[2:3]
	v_mad_u64_u32 v[6:7], s[12:13], v4, s14, v[6:7]
	s_cmp_lg_u32 s10, 0
	v_mov_b32_e32 v0, v1
	v_mov_b32_e32 v7, v2
	s_cbranch_scc1 .LBB21_1165
; %bb.1166:
	v_mov_b32_e32 v8, v7
	s_cbranch_execnz .LBB21_1169
.LBB21_1167:
	s_load_dwordx4 s[8:11], s[34:35], 0x4
	s_load_dwordx2 s[2:3], s[34:35], 0xc4
	s_cmp_lt_u32 s33, 2
	s_waitcnt lgkmcnt(0)
	v_mul_hi_u32 v0, s9, v13
	v_add_u32_e32 v0, v13, v0
	v_lshrrev_b32_e32 v0, s10, v0
	s_waitcnt vmcnt(0)
	v_mul_lo_u32 v1, v0, s8
	v_sub_u32_e32 v1, v13, v1
	v_mul_lo_u32 v8, v1, s3
	v_mul_lo_u32 v6, v1, s2
	s_cbranch_scc1 .LBB21_1169
; %bb.1168:
	s_load_dwordx4 s[8:11], s[34:35], 0x10
	s_load_dwordx2 s[2:3], s[34:35], 0xcc
	s_waitcnt lgkmcnt(0)
	v_mul_hi_u32 v1, s9, v0
	v_add_u32_e32 v1, v0, v1
	v_lshrrev_b32_e32 v1, s10, v1
	v_mul_lo_u32 v1, v1, s8
	v_sub_u32_e32 v0, v0, v1
	v_mad_u64_u32 v[6:7], s[8:9], v0, s2, v[6:7]
	v_mad_u64_u32 v[8:9], s[2:3], v0, s3, v[8:9]
.LBB21_1169:
	s_and_b64 vcc, exec, s[0:1]
	v_add_u32_e32 v0, 0x80, v13
	s_cbranch_vccnz .LBB21_1176
; %bb.1170:
	s_mov_b32 s2, 0
	s_cmp_lg_u32 s33, 0
	v_mov_b32_e32 v10, 0
	v_mov_b32_e32 v4, 0
	s_cbranch_scc0 .LBB21_1175
; %bb.1171:
	s_min_u32 s38, s74, 15
	s_add_i32 s38, s38, 1
	s_cmp_eq_u32 s74, 2
	s_cbranch_scc1 .LBB21_1177
; %bb.1172:
	s_add_u32 s30, s34, 0xc4
	s_addc_u32 s31, s35, 0
	s_and_b32 s2, s38, 28
	s_mov_b32 s3, 0
	v_mov_b32_e32 v4, 0
	s_mov_b64 s[36:37], s[34:35]
	s_waitcnt vmcnt(0)
	v_mov_b32_e32 v1, v0
	v_mov_b32_e32 v10, 0
.LBB21_1173:                            ; =>This Inner Loop Header: Depth=1
	s_load_dwordx8 s[16:23], s[36:37], 0x4
	s_load_dwordx4 s[24:27], s[36:37], 0x24
	s_load_dwordx8 s[8:15], s[30:31], 0x0
	s_add_u32 s36, s36, 48
	s_addc_u32 s37, s37, 0
	s_waitcnt lgkmcnt(0)
	v_mul_hi_u32 v2, s17, v1
	v_add_u32_e32 v2, v1, v2
	v_lshrrev_b32_e32 v2, s18, v2
	v_mul_lo_u32 v3, v2, s16
	v_mul_hi_u32 v5, s20, v2
	v_sub_u32_e32 v1, v1, v3
	v_add_u32_e32 v3, v2, v5
	v_lshrrev_b32_e32 v3, s21, v3
	v_mul_lo_u32 v7, v3, s19
	v_mul_hi_u32 v9, s23, v3
	v_sub_u32_e32 v2, v2, v7
	v_add_u32_e32 v7, v3, v9
	v_mul_lo_u32 v5, v1, s9
	v_mul_lo_u32 v1, v1, s8
	;; [unrolled: 1-line block ×4, first 2 shown]
	v_lshrrev_b32_e32 v7, s24, v7
	v_add3_u32 v2, v1, v4, v2
	v_add3_u32 v4, v5, v10, v9
	v_mul_lo_u32 v1, v7, s22
	v_mul_hi_u32 v5, s26, v7
	v_sub_u32_e32 v1, v3, v1
	v_add_u32_e32 v3, v7, v5
	v_mul_lo_u32 v5, v1, s12
	v_mul_lo_u32 v9, v1, s13
	v_lshrrev_b32_e32 v1, s27, v3
	s_add_i32 s3, s3, 4
	v_mul_lo_u32 v3, v1, s25
	s_add_u32 s30, s30, 32
	v_sub_u32_e32 v3, v7, v3
	s_addc_u32 s31, s31, 0
	v_mul_lo_u32 v7, v3, s14
	v_mul_lo_u32 v3, v3, s15
	s_cmp_lg_u32 s2, s3
	v_add3_u32 v10, v9, v4, v3
	v_add3_u32 v4, v5, v2, v7
	s_cbranch_scc1 .LBB21_1173
; %bb.1174:
	v_mov_b32_e32 v5, v10
	s_and_b32 s10, s38, 3
	s_cmp_eq_u32 s10, 0
	s_cbranch_scc0 .LBB21_1178
.LBB21_1175:
	s_cbranch_execz .LBB21_1181
	s_branch .LBB21_1183
.LBB21_1176:
                                        ; implicit-def: $vgpr10
                                        ; implicit-def: $vgpr4
	s_branch .LBB21_1181
.LBB21_1177:
	s_mov_b32 s3, s2
	v_pk_mov_b32 v[4:5], s[2:3], s[2:3] op_sel:[0,1]
                                        ; implicit-def: $vgpr10
	s_waitcnt vmcnt(0)
	v_mov_b32_e32 v1, v0
	s_and_b32 s10, s38, 3
	s_cmp_eq_u32 s10, 0
	s_cbranch_scc1 .LBB21_1175
.LBB21_1178:
	s_lshl_b32 s3, s2, 3
	s_add_u32 s3, s3, s34
	s_addc_u32 s9, 0, s35
	s_add_u32 s8, s3, 0xc4
	s_addc_u32 s9, s9, 0
	s_mul_i32 s2, s2, 12
	s_add_u32 s2, s34, s2
	s_addc_u32 s3, 0, s35
.LBB21_1179:                            ; =>This Inner Loop Header: Depth=1
	s_load_dwordx2 s[12:13], s[2:3], 0x4
	s_load_dword s11, s[2:3], 0xc
	s_load_dwordx2 s[14:15], s[8:9], 0x0
	s_add_u32 s2, s2, 12
	v_mov_b32_e32 v2, v5
	s_waitcnt lgkmcnt(0)
	v_mul_hi_u32 v3, s13, v1
	v_add_u32_e32 v3, v1, v3
	v_lshrrev_b32_e32 v3, s11, v3
	s_addc_u32 s3, s3, 0
	v_mul_lo_u32 v5, v3, s12
	s_add_u32 s8, s8, 8
	v_sub_u32_e32 v5, v1, v5
	s_addc_u32 s9, s9, 0
	s_add_i32 s10, s10, -1
	v_mov_b32_e32 v1, v3
	v_mad_u64_u32 v[2:3], s[12:13], v5, s15, v[2:3]
	v_mad_u64_u32 v[4:5], s[12:13], v5, s14, v[4:5]
	s_cmp_lg_u32 s10, 0
	v_mov_b32_e32 v5, v2
	s_cbranch_scc1 .LBB21_1179
; %bb.1180:
	v_mov_b32_e32 v10, v5
	s_cbranch_execnz .LBB21_1183
.LBB21_1181:
	s_load_dwordx4 s[8:11], s[34:35], 0x4
	s_load_dwordx2 s[2:3], s[34:35], 0xc4
	s_cmp_lt_u32 s33, 2
	s_waitcnt vmcnt(0) lgkmcnt(0)
	v_mul_hi_u32 v1, s9, v0
	v_add_u32_e32 v1, v0, v1
	v_lshrrev_b32_e32 v1, s10, v1
	v_mul_lo_u32 v2, v1, s8
	v_sub_u32_e32 v0, v0, v2
	v_mul_lo_u32 v10, v0, s3
	v_mul_lo_u32 v4, v0, s2
	s_cbranch_scc1 .LBB21_1183
; %bb.1182:
	s_load_dwordx4 s[8:11], s[34:35], 0x10
	s_load_dwordx2 s[2:3], s[34:35], 0xcc
	s_waitcnt lgkmcnt(0)
	v_mul_hi_u32 v0, s9, v1
	v_add_u32_e32 v0, v1, v0
	v_lshrrev_b32_e32 v0, s10, v0
	v_mul_lo_u32 v0, v0, s8
	v_sub_u32_e32 v0, v1, v0
	v_mad_u64_u32 v[4:5], s[8:9], v0, s2, v[4:5]
	v_mad_u64_u32 v[10:11], s[2:3], v0, s3, v[10:11]
.LBB21_1183:
	s_and_b64 vcc, exec, s[0:1]
	v_add_u32_e32 v0, 0x100, v13
	s_cbranch_vccnz .LBB21_1190
; %bb.1184:
	s_mov_b32 s2, 0
	s_cmp_lg_u32 s33, 0
	v_mov_b32_e32 v14, 0
	v_mov_b32_e32 v2, 0
	s_cbranch_scc0 .LBB21_1189
; %bb.1185:
	s_min_u32 s38, s74, 15
	s_add_i32 s38, s38, 1
	s_cmp_eq_u32 s74, 2
	s_cbranch_scc1 .LBB21_1191
; %bb.1186:
	s_add_u32 s30, s34, 0xc4
	s_addc_u32 s31, s35, 0
	s_and_b32 s2, s38, 28
	s_mov_b32 s3, 0
	v_mov_b32_e32 v2, 0
	s_mov_b64 s[36:37], s[34:35]
	s_waitcnt vmcnt(0)
	v_mov_b32_e32 v1, v0
	v_mov_b32_e32 v14, 0
.LBB21_1187:                            ; =>This Inner Loop Header: Depth=1
	s_load_dwordx8 s[16:23], s[36:37], 0x4
	s_load_dwordx4 s[24:27], s[36:37], 0x24
	s_load_dwordx8 s[8:15], s[30:31], 0x0
	s_add_u32 s36, s36, 48
	s_addc_u32 s37, s37, 0
	s_waitcnt lgkmcnt(0)
	v_mul_hi_u32 v3, s17, v1
	v_add_u32_e32 v3, v1, v3
	v_lshrrev_b32_e32 v3, s18, v3
	v_mul_lo_u32 v5, v3, s16
	v_mul_hi_u32 v7, s20, v3
	v_sub_u32_e32 v1, v1, v5
	v_add_u32_e32 v5, v3, v7
	v_lshrrev_b32_e32 v5, s21, v5
	v_mul_lo_u32 v9, v5, s19
	v_mul_hi_u32 v11, s23, v5
	v_sub_u32_e32 v3, v3, v9
	v_add_u32_e32 v9, v5, v11
	v_mul_lo_u32 v7, v1, s9
	v_mul_lo_u32 v1, v1, s8
	;; [unrolled: 1-line block ×4, first 2 shown]
	v_lshrrev_b32_e32 v9, s24, v9
	v_add3_u32 v2, v1, v2, v3
	v_add3_u32 v3, v7, v14, v11
	v_mul_lo_u32 v1, v9, s22
	v_mul_hi_u32 v7, s26, v9
	v_sub_u32_e32 v1, v5, v1
	v_add_u32_e32 v5, v9, v7
	v_mul_lo_u32 v7, v1, s12
	v_mul_lo_u32 v11, v1, s13
	v_lshrrev_b32_e32 v1, s27, v5
	s_add_i32 s3, s3, 4
	v_mul_lo_u32 v5, v1, s25
	s_add_u32 s30, s30, 32
	v_sub_u32_e32 v5, v9, v5
	s_addc_u32 s31, s31, 0
	v_mul_lo_u32 v9, v5, s14
	v_mul_lo_u32 v5, v5, s15
	s_cmp_lg_u32 s2, s3
	v_add3_u32 v14, v11, v3, v5
	v_add3_u32 v2, v7, v2, v9
	s_cbranch_scc1 .LBB21_1187
; %bb.1188:
	v_mov_b32_e32 v3, v14
	s_and_b32 s10, s38, 3
	s_cmp_eq_u32 s10, 0
	s_cbranch_scc0 .LBB21_1192
.LBB21_1189:
	s_cbranch_execz .LBB21_1195
	s_branch .LBB21_1197
.LBB21_1190:
                                        ; implicit-def: $vgpr14
                                        ; implicit-def: $vgpr2
	s_branch .LBB21_1195
.LBB21_1191:
	s_mov_b32 s3, s2
	v_pk_mov_b32 v[2:3], s[2:3], s[2:3] op_sel:[0,1]
                                        ; implicit-def: $vgpr14
	s_waitcnt vmcnt(0)
	v_mov_b32_e32 v1, v0
	s_and_b32 s10, s38, 3
	s_cmp_eq_u32 s10, 0
	s_cbranch_scc1 .LBB21_1189
.LBB21_1192:
	s_lshl_b32 s3, s2, 3
	s_add_u32 s3, s3, s34
	s_addc_u32 s9, 0, s35
	s_add_u32 s8, s3, 0xc4
	s_addc_u32 s9, s9, 0
	s_mul_i32 s2, s2, 12
	s_add_u32 s2, s34, s2
	s_addc_u32 s3, 0, s35
.LBB21_1193:                            ; =>This Inner Loop Header: Depth=1
	s_load_dwordx2 s[12:13], s[2:3], 0x4
	s_load_dword s11, s[2:3], 0xc
	s_load_dwordx2 s[14:15], s[8:9], 0x0
	v_mov_b32_e32 v12, v3
	s_add_u32 s2, s2, 12
	s_waitcnt lgkmcnt(0)
	v_mul_hi_u32 v3, s13, v1
	v_add_u32_e32 v3, v1, v3
	v_lshrrev_b32_e32 v3, s11, v3
	s_addc_u32 s3, s3, 0
	v_mul_lo_u32 v5, v3, s12
	s_add_u32 s8, s8, 8
	v_sub_u32_e32 v5, v1, v5
	s_addc_u32 s9, s9, 0
	s_add_i32 s10, s10, -1
	v_mov_b32_e32 v1, v3
	v_mad_u64_u32 v[12:13], s[12:13], v5, s15, v[12:13]
	v_mad_u64_u32 v[2:3], s[12:13], v5, s14, v[2:3]
	s_cmp_lg_u32 s10, 0
	v_mov_b32_e32 v3, v12
	s_cbranch_scc1 .LBB21_1193
; %bb.1194:
	v_mov_b32_e32 v14, v3
	s_cbranch_execnz .LBB21_1197
.LBB21_1195:
	s_load_dwordx4 s[8:11], s[34:35], 0x4
	s_load_dwordx2 s[2:3], s[34:35], 0xc4
	s_cmp_lt_u32 s33, 2
	s_waitcnt vmcnt(0) lgkmcnt(0)
	v_mul_hi_u32 v1, s9, v0
	v_add_u32_e32 v1, v0, v1
	v_lshrrev_b32_e32 v1, s10, v1
	v_mul_lo_u32 v2, v1, s8
	v_sub_u32_e32 v0, v0, v2
	v_mul_lo_u32 v14, v0, s3
	v_mul_lo_u32 v2, v0, s2
	s_cbranch_scc1 .LBB21_1197
; %bb.1196:
	s_load_dwordx4 s[8:11], s[34:35], 0x10
	s_load_dwordx2 s[2:3], s[34:35], 0xcc
	s_waitcnt lgkmcnt(0)
	v_mul_hi_u32 v0, s9, v1
	v_add_u32_e32 v0, v1, v0
	v_lshrrev_b32_e32 v0, s10, v0
	v_mul_lo_u32 v0, v0, s8
	v_sub_u32_e32 v0, v1, v0
	v_mad_u64_u32 v[2:3], s[8:9], v0, s2, v[2:3]
	v_mad_u64_u32 v[14:15], s[2:3], v0, s3, v[14:15]
.LBB21_1197:
	s_and_b64 vcc, exec, s[0:1]
	s_cbranch_vccnz .LBB21_1204
; %bb.1198:
	s_mov_b32 s24, 0
	s_cmp_lg_u32 s33, 0
	v_mov_b32_e32 v12, 0
	v_mov_b32_e32 v0, 0
	s_cbranch_scc0 .LBB21_1203
; %bb.1199:
	s_min_u32 s36, s74, 15
	s_add_i32 s36, s36, 1
	s_cmp_eq_u32 s74, 2
	s_cbranch_scc1 .LBB21_1205
; %bb.1200:
	s_add_u32 s26, s34, 0xc4
	s_addc_u32 s27, s35, 0
	s_and_b32 s24, s36, 28
	s_mov_b32 s25, 0
	v_mov_b32_e32 v0, 0
	s_mov_b64 s[30:31], s[34:35]
	v_mov_b32_e32 v3, v16
	v_mov_b32_e32 v12, 0
.LBB21_1201:                            ; =>This Inner Loop Header: Depth=1
	s_load_dwordx8 s[16:23], s[30:31], 0x4
	s_load_dwordx4 s[0:3], s[30:31], 0x24
	s_load_dwordx8 s[8:15], s[26:27], 0x0
	s_add_u32 s30, s30, 48
	s_addc_u32 s31, s31, 0
	s_waitcnt vmcnt(0) lgkmcnt(0)
	v_mul_hi_u32 v1, s17, v3
	v_add_u32_e32 v1, v3, v1
	v_lshrrev_b32_e32 v1, s18, v1
	v_mul_lo_u32 v5, v1, s16
	v_mul_hi_u32 v7, s20, v1
	v_sub_u32_e32 v3, v3, v5
	v_add_u32_e32 v5, v1, v7
	v_lshrrev_b32_e32 v5, s21, v5
	v_mul_lo_u32 v9, v5, s19
	v_mul_hi_u32 v11, s23, v5
	v_sub_u32_e32 v1, v1, v9
	v_add_u32_e32 v9, v5, v11
	v_mul_lo_u32 v7, v3, s9
	v_mul_lo_u32 v3, v3, s8
	;; [unrolled: 1-line block ×4, first 2 shown]
	v_lshrrev_b32_e32 v9, s0, v9
	v_add3_u32 v0, v3, v0, v1
	v_add3_u32 v1, v7, v12, v11
	v_mul_lo_u32 v3, v9, s22
	v_mul_hi_u32 v7, s2, v9
	v_sub_u32_e32 v3, v5, v3
	v_add_u32_e32 v5, v9, v7
	v_mul_lo_u32 v7, v3, s12
	v_mul_lo_u32 v11, v3, s13
	v_lshrrev_b32_e32 v3, s3, v5
	s_add_i32 s25, s25, 4
	v_mul_lo_u32 v5, v3, s1
	s_add_u32 s26, s26, 32
	v_sub_u32_e32 v5, v9, v5
	s_addc_u32 s27, s27, 0
	v_mul_lo_u32 v9, v5, s14
	v_mul_lo_u32 v5, v5, s15
	s_cmp_lg_u32 s24, s25
	v_add3_u32 v12, v11, v1, v5
	v_add3_u32 v0, v7, v0, v9
	s_cbranch_scc1 .LBB21_1201
; %bb.1202:
	v_mov_b32_e32 v1, v12
	s_and_b32 s8, s36, 3
	s_cmp_eq_u32 s8, 0
	s_cbranch_scc0 .LBB21_1206
.LBB21_1203:
	s_cbranch_execz .LBB21_1209
	s_branch .LBB21_1211
.LBB21_1204:
                                        ; implicit-def: $vgpr12
                                        ; implicit-def: $vgpr0
	s_branch .LBB21_1209
.LBB21_1205:
	s_mov_b32 s25, s24
	s_waitcnt vmcnt(0)
	v_pk_mov_b32 v[0:1], s[24:25], s[24:25] op_sel:[0,1]
                                        ; implicit-def: $vgpr12
	v_mov_b32_e32 v3, v16
	s_and_b32 s8, s36, 3
	s_cmp_eq_u32 s8, 0
	s_cbranch_scc1 .LBB21_1203
.LBB21_1206:
	s_lshl_b32 s0, s24, 3
	s_add_u32 s0, s0, s34
	s_addc_u32 s1, 0, s35
	s_add_u32 s0, s0, 0xc4
	s_addc_u32 s1, s1, 0
	s_mul_i32 s2, s24, 12
	s_add_u32 s2, s34, s2
	s_addc_u32 s3, 0, s35
.LBB21_1207:                            ; =>This Inner Loop Header: Depth=1
	s_load_dwordx2 s[10:11], s[2:3], 0x4
	s_load_dword s9, s[2:3], 0xc
	s_load_dwordx2 s[12:13], s[0:1], 0x0
	v_mov_b32_e32 v12, v1
	s_add_u32 s2, s2, 12
	s_waitcnt lgkmcnt(0)
	v_mul_hi_u32 v1, s11, v3
	v_add_u32_e32 v1, v3, v1
	v_lshrrev_b32_e32 v1, s9, v1
	s_addc_u32 s3, s3, 0
	v_mul_lo_u32 v5, v1, s10
	s_add_u32 s0, s0, 8
	v_sub_u32_e32 v5, v3, v5
	s_addc_u32 s1, s1, 0
	s_add_i32 s8, s8, -1
	v_mov_b32_e32 v3, v1
	v_mad_u64_u32 v[12:13], s[10:11], v5, s13, v[12:13]
	v_mad_u64_u32 v[0:1], s[10:11], v5, s12, v[0:1]
	s_cmp_lg_u32 s8, 0
	v_mov_b32_e32 v1, v12
	s_cbranch_scc1 .LBB21_1207
; %bb.1208:
	v_mov_b32_e32 v12, v1
	s_cbranch_execnz .LBB21_1211
.LBB21_1209:
	s_load_dwordx4 s[0:3], s[34:35], 0x4
	s_load_dwordx2 s[8:9], s[34:35], 0xc4
	s_cmp_lt_u32 s33, 2
	s_waitcnt lgkmcnt(0)
	v_mul_hi_u32 v0, s1, v16
	v_add_u32_e32 v0, v16, v0
	s_waitcnt vmcnt(0)
	v_lshrrev_b32_e32 v1, s2, v0
	v_mul_lo_u32 v0, v1, s0
	v_sub_u32_e32 v0, v16, v0
	v_mul_lo_u32 v12, v0, s9
	v_mul_lo_u32 v0, v0, s8
	s_cbranch_scc1 .LBB21_1211
; %bb.1210:
	s_load_dwordx4 s[0:3], s[34:35], 0x10
	s_load_dwordx2 s[8:9], s[34:35], 0xcc
	s_waitcnt lgkmcnt(0)
	v_mul_hi_u32 v3, s1, v1
	v_add_u32_e32 v3, v1, v3
	v_lshrrev_b32_e32 v3, s2, v3
	v_mul_lo_u32 v3, v3, s0
	v_sub_u32_e32 v3, v1, v3
	v_mad_u64_u32 v[0:1], s[0:1], v3, s8, v[0:1]
	v_mad_u64_u32 v[12:13], s[0:1], v3, s9, v[12:13]
.LBB21_1211:
	s_load_dword s20, s[4:5], 0x160
	s_load_dwordx4 s[8:11], s[34:35], 0x148
	s_waitcnt lgkmcnt(0)
	s_lshr_b32 s21, s20, 16
	s_waitcnt vmcnt(0)
	v_mov_b32_e32 v1, s11
	v_add_co_u32_e32 v8, vcc, s10, v8
	v_addc_co_u32_e32 v9, vcc, 0, v1, vcc
	v_mov_b32_e32 v1, 11
	v_cmp_lt_i16_sdwa s[0:1], s21, v1 src0_sel:BYTE_0 src1_sel:DWORD
	s_and_b64 vcc, exec, s[0:1]
	s_cbranch_vccnz .LBB21_1218
; %bb.1212:
	v_mov_b32_e32 v1, 25
	v_cmp_gt_i16_sdwa s[0:1], s21, v1 src0_sel:BYTE_0 src1_sel:DWORD
	s_mov_b64 s[2:3], 0
	s_and_b64 vcc, exec, s[0:1]
	s_cbranch_vccz .LBB21_1220
; %bb.1213:
	v_mov_b32_e32 v1, 28
	v_cmp_gt_i16_sdwa s[0:1], s21, v1 src0_sel:BYTE_0 src1_sel:DWORD
	s_and_b64 vcc, exec, s[0:1]
	s_cbranch_vccz .LBB21_1221
; %bb.1214:
	v_mov_b32_e32 v1, 43
	v_cmp_gt_i16_sdwa s[0:1], s21, v1 src0_sel:BYTE_0 src1_sel:DWORD
	;; [unrolled: 5-line block ×3, first 2 shown]
	s_and_b64 vcc, exec, s[0:1]
	s_cbranch_vccz .LBB21_1223
; %bb.1216:
	v_mov_b32_e32 v1, 46
	v_cmp_eq_u16_sdwa s[0:1], s21, v1 src0_sel:BYTE_0 src1_sel:DWORD
	s_mov_b64 s[12:13], 0
	s_and_b64 vcc, exec, s[0:1]
	s_cbranch_vccz .LBB21_1226
; %bb.1217:
	global_load_dword v1, v[8:9], off
	s_mov_b64 s[0:1], 0
	s_mov_b64 s[4:5], -1
	s_waitcnt vmcnt(0)
	v_lshlrev_b32_e32 v1, 16, v1
	s_branch .LBB21_1227
.LBB21_1218:
	s_mov_b64 s[4:5], 0
                                        ; implicit-def: $vgpr1
	s_mov_b64 s[12:13], s[6:7]
	s_cbranch_execnz .LBB21_1290
.LBB21_1219:
	s_andn2_b64 vcc, exec, s[4:5]
	s_cbranch_vccz .LBB21_1335
	s_branch .LBB21_1780
.LBB21_1220:
	s_mov_b64 s[4:5], 0
	s_mov_b64 s[0:1], 0
                                        ; implicit-def: $vgpr1
	s_cbranch_execnz .LBB21_1255
	s_branch .LBB21_1286
.LBB21_1221:
	s_mov_b64 s[12:13], -1
	s_mov_b64 s[4:5], 0
	s_mov_b64 s[0:1], 0
                                        ; implicit-def: $vgpr1
	s_branch .LBB21_1236
.LBB21_1222:
	s_mov_b64 s[4:5], 0
	s_mov_b64 s[0:1], 0
                                        ; implicit-def: $vgpr1
	s_cbranch_execnz .LBB21_1232
	s_branch .LBB21_1235
.LBB21_1223:
	s_mov_b64 s[12:13], -1
	s_mov_b64 s[4:5], 0
	s_mov_b64 s[0:1], 0
                                        ; implicit-def: $vgpr1
	s_branch .LBB21_1227
.LBB21_1224:
	s_or_saveexec_b64 s[12:13], s[12:13]
                                        ; implicit-def: $sgpr14
	s_xor_b64 exec, exec, s[12:13]
	s_cbranch_execz .LBB21_1067
.LBB21_1225:
	s_mov_b32 s14, 0x46000000
	v_add_f32_e64 v0, |v2|, s14
	v_and_b32_e32 v0, 0xff, v0
	v_cmp_ne_u32_e32 vcc, 0, v0
	s_andn2_b64 s[6:7], s[6:7], exec
	s_and_b64 s[16:17], vcc, exec
	s_mov_b32 s14, 0
	s_or_b64 s[6:7], s[6:7], s[16:17]
	s_or_b64 exec, exec, s[12:13]
	v_mov_b32_e32 v3, s14
	s_and_saveexec_b64 s[12:13], s[6:7]
	s_cbranch_execnz .LBB21_1068
	s_branch .LBB21_1069
.LBB21_1226:
	s_mov_b64 s[0:1], -1
                                        ; implicit-def: $vgpr1
	s_mov_b64 s[4:5], 0
.LBB21_1227:
	s_and_b64 vcc, exec, s[12:13]
	s_cbranch_vccz .LBB21_1230
; %bb.1228:
	v_mov_b32_e32 v1, 44
	v_cmp_eq_u16_sdwa s[0:1], s21, v1 src0_sel:BYTE_0 src1_sel:DWORD
	s_and_b64 vcc, exec, s[0:1]
	s_cbranch_vccz .LBB21_1231
; %bb.1229:
	global_load_ubyte v1, v[8:9], off
	s_movk_i32 s4, 0xff
	v_mov_b32_e32 v3, 0x7f800001
	v_mov_b32_e32 v5, 0x400000
	s_mov_b64 s[0:1], 0
	s_waitcnt vmcnt(0)
	v_lshlrev_b32_e32 v7, 23, v1
	v_cmp_ne_u32_e32 vcc, s4, v1
	v_cndmask_b32_e32 v3, v3, v7, vcc
	v_cmp_ne_u32_e32 vcc, 0, v1
	v_cndmask_b32_e32 v1, v5, v3, vcc
	s_mov_b64 s[4:5], -1
.LBB21_1230:
	s_branch .LBB21_1235
.LBB21_1231:
	s_mov_b64 s[0:1], -1
                                        ; implicit-def: $vgpr1
	s_branch .LBB21_1235
.LBB21_1232:
	v_mov_b32_e32 v1, 29
	v_cmp_eq_u16_sdwa s[0:1], s21, v1 src0_sel:BYTE_0 src1_sel:DWORD
	s_and_b64 vcc, exec, s[0:1]
	s_cbranch_vccz .LBB21_1234
; %bb.1233:
	global_load_dwordx2 v[16:17], v[8:9], off
	s_mov_b64 s[0:1], 0
	s_mov_b64 s[4:5], -1
	s_mov_b64 s[12:13], 0
	s_waitcnt vmcnt(0)
	v_ffbh_u32_e32 v1, v17
	v_min_u32_e32 v1, 32, v1
	v_lshlrev_b64 v[16:17], v1, v[16:17]
	v_min_u32_e32 v3, 1, v16
	v_or_b32_e32 v3, v17, v3
	v_cvt_f32_u32_e32 v3, v3
	v_sub_u32_e32 v1, 32, v1
	v_ldexp_f32 v1, v3, v1
	s_branch .LBB21_1236
.LBB21_1234:
	s_mov_b64 s[0:1], -1
                                        ; implicit-def: $vgpr1
.LBB21_1235:
	s_mov_b64 s[12:13], 0
.LBB21_1236:
	s_and_b64 vcc, exec, s[12:13]
	s_cbranch_vccz .LBB21_1254
; %bb.1237:
	v_mov_b32_e32 v1, 27
	v_cmp_lt_i16_sdwa s[4:5], s21, v1 src0_sel:BYTE_0 src1_sel:DWORD
	s_and_b64 vcc, exec, s[4:5]
	s_cbranch_vccnz .LBB21_1240
; %bb.1238:
	v_cmp_gt_i16_sdwa s[4:5], s21, v1 src0_sel:BYTE_0 src1_sel:DWORD
	s_and_b64 vcc, exec, s[4:5]
	s_cbranch_vccz .LBB21_1241
; %bb.1239:
	global_load_dword v1, v[8:9], off
	s_mov_b64 s[4:5], 0
	s_waitcnt vmcnt(0)
	v_cvt_f32_u32_e32 v1, v1
	s_branch .LBB21_1242
.LBB21_1240:
	s_mov_b64 s[4:5], -1
                                        ; implicit-def: $vgpr1
	s_branch .LBB21_1245
.LBB21_1241:
	s_mov_b64 s[4:5], -1
                                        ; implicit-def: $vgpr1
.LBB21_1242:
	s_andn2_b64 vcc, exec, s[4:5]
	s_cbranch_vccnz .LBB21_1244
; %bb.1243:
	global_load_ushort v1, v[8:9], off
	s_waitcnt vmcnt(0)
	v_cvt_f32_u32_e32 v1, v1
.LBB21_1244:
	s_mov_b64 s[4:5], 0
.LBB21_1245:
	s_andn2_b64 vcc, exec, s[4:5]
	s_cbranch_vccnz .LBB21_1253
; %bb.1246:
	global_load_ubyte v3, v[8:9], off
	s_movk_i32 s4, 0x7f
                                        ; implicit-def: $sgpr16
	s_waitcnt vmcnt(0)
	v_cmp_lt_i16_e32 vcc, s4, v3
	s_mov_b64 s[4:5], 0
	s_and_saveexec_b64 s[12:13], vcc
	s_xor_b64 s[12:13], exec, s[12:13]
	s_cbranch_execz .LBB21_1266
; %bb.1247:
	s_movk_i32 s4, 0x80
	v_cmp_eq_u16_e32 vcc, s4, v3
	s_mov_b64 s[4:5], -1
                                        ; implicit-def: $sgpr16
	s_and_saveexec_b64 s[14:15], vcc
; %bb.1248:
	s_mov_b32 s16, 0x7f800001
	s_xor_b64 s[4:5], exec, -1
; %bb.1249:
	s_or_b64 exec, exec, s[14:15]
	s_and_b64 s[4:5], s[4:5], exec
	s_or_saveexec_b64 s[12:13], s[12:13]
	v_mov_b32_e32 v1, s16
	s_xor_b64 exec, exec, s[12:13]
	s_cbranch_execnz .LBB21_1267
.LBB21_1250:
	s_or_b64 exec, exec, s[12:13]
	s_and_saveexec_b64 s[12:13], s[4:5]
	s_cbranch_execz .LBB21_1252
.LBB21_1251:
	v_lshlrev_b32_e32 v1, 24, v3
	v_and_b32_e32 v3, 0xffff, v3
	v_and_b32_e32 v5, 7, v3
	v_ffbh_u32_e32 v11, v5
	v_min_u32_e32 v11, 32, v11
	v_subrev_u32_e32 v13, 28, v11
	v_bfe_u32 v7, v3, 3, 4
	v_lshlrev_b32_e32 v3, v13, v3
	v_sub_u32_e32 v11, 29, v11
	v_and_b32_e32 v3, 7, v3
	v_cmp_eq_u32_e32 vcc, 0, v7
	v_cndmask_b32_e32 v7, v7, v11, vcc
	v_cndmask_b32_e32 v3, v5, v3, vcc
	v_mov_b32_e32 v5, 0x3b800000
	v_lshlrev_b32_e32 v3, 20, v3
	v_and_b32_e32 v1, 0x80000000, v1
	v_lshl_add_u32 v5, v7, 23, v5
	v_or3_b32 v1, v1, v5, v3
.LBB21_1252:
	s_or_b64 exec, exec, s[12:13]
.LBB21_1253:
	s_mov_b64 s[4:5], -1
.LBB21_1254:
	s_branch .LBB21_1286
.LBB21_1255:
	v_mov_b32_e32 v1, 22
	v_cmp_gt_i16_sdwa s[2:3], s21, v1 src0_sel:BYTE_0 src1_sel:DWORD
	s_and_b64 vcc, exec, s[2:3]
	s_cbranch_vccz .LBB21_1265
; %bb.1256:
	v_mov_b32_e32 v1, 24
	v_cmp_lt_i16_sdwa s[2:3], s21, v1 src0_sel:BYTE_0 src1_sel:DWORD
	s_and_b64 vcc, exec, s[2:3]
	s_cbranch_vccnz .LBB21_1268
; %bb.1257:
	v_cmp_gt_i16_sdwa s[2:3], s21, v1 src0_sel:BYTE_0 src1_sel:DWORD
	s_and_b64 vcc, exec, s[2:3]
	s_cbranch_vccz .LBB21_1269
; %bb.1258:
	global_load_ubyte v3, v[8:9], off
	s_movk_i32 s2, 0x7f
                                        ; implicit-def: $sgpr14
	s_waitcnt vmcnt(0)
	v_cmp_lt_i16_e32 vcc, s2, v3
	s_mov_b64 s[2:3], 0
	s_and_saveexec_b64 s[4:5], vcc
	s_xor_b64 s[4:5], exec, s[4:5]
	s_cbranch_execz .LBB21_1280
; %bb.1259:
	s_movk_i32 s2, 0x80
	v_cmp_eq_u16_e32 vcc, s2, v3
	s_mov_b64 s[2:3], -1
                                        ; implicit-def: $sgpr14
	s_and_saveexec_b64 s[12:13], vcc
; %bb.1260:
	s_mov_b32 s14, 0x7f800001
	s_xor_b64 s[2:3], exec, -1
; %bb.1261:
	s_or_b64 exec, exec, s[12:13]
	s_and_b64 s[2:3], s[2:3], exec
	s_or_saveexec_b64 s[4:5], s[4:5]
	v_mov_b32_e32 v1, s14
	s_xor_b64 exec, exec, s[4:5]
	s_cbranch_execnz .LBB21_1281
.LBB21_1262:
	s_or_b64 exec, exec, s[4:5]
	s_and_saveexec_b64 s[4:5], s[2:3]
	s_cbranch_execz .LBB21_1264
.LBB21_1263:
	v_lshlrev_b32_e32 v1, 24, v3
	v_and_b32_e32 v3, 0xffff, v3
	v_and_b32_e32 v5, 3, v3
	v_ffbh_u32_e32 v11, v5
	v_min_u32_e32 v11, 32, v11
	v_subrev_u32_e32 v13, 29, v11
	v_bfe_u32 v7, v3, 2, 5
	v_lshlrev_b32_e32 v3, v13, v3
	v_sub_u32_e32 v11, 30, v11
	v_and_b32_e32 v3, 3, v3
	v_cmp_eq_u32_e32 vcc, 0, v7
	v_cndmask_b32_e32 v7, v7, v11, vcc
	v_cndmask_b32_e32 v3, v5, v3, vcc
	v_mov_b32_e32 v5, 0x37800000
	v_lshlrev_b32_e32 v3, 21, v3
	v_and_b32_e32 v1, 0x80000000, v1
	v_lshl_add_u32 v5, v7, 23, v5
	v_or3_b32 v1, v1, v5, v3
.LBB21_1264:
	s_or_b64 exec, exec, s[4:5]
	s_mov_b64 s[2:3], 0
	s_branch .LBB21_1270
.LBB21_1265:
                                        ; implicit-def: $vgpr1
	s_mov_b64 s[2:3], 0
	s_branch .LBB21_1276
.LBB21_1266:
	s_or_saveexec_b64 s[12:13], s[12:13]
	v_mov_b32_e32 v1, s16
	s_xor_b64 exec, exec, s[12:13]
	s_cbranch_execz .LBB21_1250
.LBB21_1267:
	v_cmp_ne_u16_e32 vcc, 0, v3
	s_andn2_b64 s[4:5], s[4:5], exec
	s_and_b64 s[14:15], vcc, exec
	v_mov_b32_e32 v1, 0
	s_or_b64 s[4:5], s[4:5], s[14:15]
	s_or_b64 exec, exec, s[12:13]
	s_and_saveexec_b64 s[12:13], s[4:5]
	s_cbranch_execnz .LBB21_1251
	s_branch .LBB21_1252
.LBB21_1268:
	s_mov_b64 s[2:3], -1
                                        ; implicit-def: $vgpr1
	s_branch .LBB21_1273
.LBB21_1269:
	s_mov_b64 s[2:3], -1
                                        ; implicit-def: $vgpr1
.LBB21_1270:
	s_and_b64 vcc, exec, s[2:3]
	s_cbranch_vccz .LBB21_1272
; %bb.1271:
	global_load_ubyte v1, v[8:9], off
	s_mov_b32 s2, 0x7f800000
	s_waitcnt vmcnt(0)
	v_lshlrev_b32_e32 v1, 24, v1
	v_and_b32_e32 v3, 0x7f000000, v1
	v_ffbh_u32_e32 v5, v3
	v_min_u32_e32 v5, 32, v5
	v_sub_u32_e64 v5, v5, 4 clamp
	v_lshlrev_b32_e32 v11, v5, v3
	v_lshlrev_b32_e32 v5, 23, v5
	v_lshrrev_b32_e32 v11, 4, v11
	v_add_u32_e32 v7, 0x1000000, v3
	v_sub_u32_e32 v5, v11, v5
	v_ashrrev_i32_e32 v7, 8, v7
	v_add_u32_e32 v5, 0x3c000000, v5
	v_and_or_b32 v5, v7, s2, v5
	v_cmp_ne_u32_e32 vcc, 0, v3
	v_cndmask_b32_e32 v3, 0, v5, vcc
	s_brev_b32 s2, 1
	v_and_or_b32 v1, v1, s2, v3
.LBB21_1272:
	s_mov_b64 s[2:3], 0
.LBB21_1273:
	s_andn2_b64 vcc, exec, s[2:3]
	s_cbranch_vccnz .LBB21_1275
; %bb.1274:
	global_load_ubyte v1, v[8:9], off
	s_movk_i32 s2, 0x7f00
	s_brev_b32 s3, 16
	s_waitcnt vmcnt(0)
	v_lshlrev_b16_e32 v3, 8, v1
	v_lshlrev_b32_e32 v1, 25, v1
	v_lshrrev_b32_e32 v5, 4, v1
	v_and_or_b32 v7, v3, s2, 0.5
	v_or_b32_e32 v5, 0x70000000, v5
	v_add_f32_e32 v7, -0.5, v7
	v_mul_f32_e32 v5, 0x7800000, v5
	v_cmp_gt_u32_e32 vcc, s3, v1
	v_bfe_i32 v3, v3, 0, 16
	v_cndmask_b32_e32 v1, v5, v7, vcc
	s_brev_b32 s2, 1
	v_and_or_b32 v1, v3, s2, v1
.LBB21_1275:
	s_mov_b64 s[4:5], -1
	s_mov_b64 s[2:3], 0
	s_cbranch_execnz .LBB21_1286
.LBB21_1276:
	v_mov_b32_e32 v1, 14
	v_cmp_gt_i16_sdwa s[2:3], s21, v1 src0_sel:BYTE_0 src1_sel:DWORD
	s_and_b64 vcc, exec, s[2:3]
	s_cbranch_vccz .LBB21_1279
; %bb.1277:
	v_mov_b32_e32 v1, 15
	v_cmp_eq_u16_sdwa s[0:1], s21, v1 src0_sel:BYTE_0 src1_sel:DWORD
	s_and_b64 vcc, exec, s[0:1]
	s_cbranch_vccz .LBB21_1282
; %bb.1278:
	global_load_ushort v1, v[8:9], off
	s_mov_b64 s[0:1], 0
	s_mov_b64 s[4:5], -1
	s_waitcnt vmcnt(0)
	v_lshlrev_b32_e32 v1, 16, v1
	s_branch .LBB21_1283
.LBB21_1279:
	s_mov_b64 s[12:13], -1
                                        ; implicit-def: $vgpr1
	s_branch .LBB21_1284
.LBB21_1280:
	s_or_saveexec_b64 s[4:5], s[4:5]
	v_mov_b32_e32 v1, s14
	s_xor_b64 exec, exec, s[4:5]
	s_cbranch_execz .LBB21_1262
.LBB21_1281:
	v_cmp_ne_u16_e32 vcc, 0, v3
	s_andn2_b64 s[2:3], s[2:3], exec
	s_and_b64 s[12:13], vcc, exec
	v_mov_b32_e32 v1, 0
	s_or_b64 s[2:3], s[2:3], s[12:13]
	s_or_b64 exec, exec, s[4:5]
	s_and_saveexec_b64 s[4:5], s[2:3]
	s_cbranch_execnz .LBB21_1263
	s_branch .LBB21_1264
.LBB21_1282:
	s_mov_b64 s[0:1], -1
                                        ; implicit-def: $vgpr1
.LBB21_1283:
	s_mov_b64 s[12:13], 0
.LBB21_1284:
	s_mov_b64 s[2:3], 0
	s_and_b64 vcc, exec, s[12:13]
	s_cbranch_vccz .LBB21_1286
; %bb.1285:
	v_mov_b32_e32 v1, 11
	v_cmp_ne_u16_sdwa s[0:1], s21, v1 src0_sel:BYTE_0 src1_sel:DWORD
	s_mov_b64 s[2:3], -1
                                        ; implicit-def: $vgpr1
.LBB21_1286:
	s_and_b64 vcc, exec, s[0:1]
	s_mov_b64 s[12:13], s[6:7]
	s_cbranch_vccnz .LBB21_1363
; %bb.1287:
	s_andn2_b64 vcc, exec, s[2:3]
	s_cbranch_vccnz .LBB21_1289
.LBB21_1288:
	global_load_ubyte v1, v[8:9], off
	s_mov_b64 s[4:5], -1
	s_waitcnt vmcnt(0)
	v_cmp_ne_u16_e32 vcc, 0, v1
	v_cndmask_b32_e64 v1, 0, 1.0, vcc
.LBB21_1289:
	s_branch .LBB21_1219
.LBB21_1290:
	v_mov_b32_e32 v1, 5
	v_cmp_lt_i16_sdwa s[0:1], s21, v1 src0_sel:BYTE_0 src1_sel:DWORD
	s_and_b64 vcc, exec, s[0:1]
	s_cbranch_vccnz .LBB21_1295
; %bb.1291:
	v_mov_b32_e32 v1, 8
	v_cmp_lt_i16_sdwa s[0:1], s21, v1 src0_sel:BYTE_0 src1_sel:DWORD
	s_and_b64 vcc, exec, s[0:1]
	s_cbranch_vccnz .LBB21_1296
; %bb.1292:
	;; [unrolled: 5-line block ×3, first 2 shown]
	v_cmp_gt_i16_sdwa s[0:1], s21, v1 src0_sel:BYTE_0 src1_sel:DWORD
	s_and_b64 vcc, exec, s[0:1]
	s_cbranch_vccz .LBB21_1298
; %bb.1294:
	global_load_dwordx2 v[16:17], v[8:9], off
	s_mov_b64 s[0:1], 0
	s_waitcnt vmcnt(0)
	v_cvt_f32_f64_e32 v1, v[16:17]
	s_branch .LBB21_1299
.LBB21_1295:
                                        ; implicit-def: $vgpr1
	s_branch .LBB21_1316
.LBB21_1296:
                                        ; implicit-def: $vgpr1
	s_branch .LBB21_1305
.LBB21_1297:
	s_mov_b64 s[0:1], -1
                                        ; implicit-def: $vgpr1
	s_branch .LBB21_1302
.LBB21_1298:
	s_mov_b64 s[0:1], -1
                                        ; implicit-def: $vgpr1
.LBB21_1299:
	s_andn2_b64 vcc, exec, s[0:1]
	s_cbranch_vccnz .LBB21_1301
; %bb.1300:
	global_load_dword v1, v[8:9], off
.LBB21_1301:
	s_mov_b64 s[0:1], 0
.LBB21_1302:
	s_andn2_b64 vcc, exec, s[0:1]
	s_cbranch_vccnz .LBB21_1304
; %bb.1303:
	global_load_dword v1, v[8:9], off
	s_waitcnt vmcnt(0)
	v_cvt_f32_f16_e32 v1, v1
.LBB21_1304:
	s_cbranch_execnz .LBB21_1315
.LBB21_1305:
	s_waitcnt vmcnt(0)
	v_mov_b32_e32 v1, 6
	v_cmp_lt_i16_sdwa s[0:1], s21, v1 src0_sel:BYTE_0 src1_sel:DWORD
	s_and_b64 vcc, exec, s[0:1]
	s_cbranch_vccnz .LBB21_1308
; %bb.1306:
	v_cmp_gt_i16_sdwa s[0:1], s21, v1 src0_sel:BYTE_0 src1_sel:DWORD
	s_and_b64 vcc, exec, s[0:1]
	s_cbranch_vccz .LBB21_1309
; %bb.1307:
	global_load_dwordx2 v[16:17], v[8:9], off
	s_mov_b64 s[0:1], 0
	s_waitcnt vmcnt(0)
	v_cvt_f32_f64_e32 v1, v[16:17]
	s_branch .LBB21_1310
.LBB21_1308:
	s_mov_b64 s[0:1], -1
                                        ; implicit-def: $vgpr1
	s_branch .LBB21_1313
.LBB21_1309:
	s_mov_b64 s[0:1], -1
                                        ; implicit-def: $vgpr1
.LBB21_1310:
	s_andn2_b64 vcc, exec, s[0:1]
	s_cbranch_vccnz .LBB21_1312
; %bb.1311:
	global_load_dword v1, v[8:9], off
.LBB21_1312:
	s_mov_b64 s[0:1], 0
.LBB21_1313:
	s_andn2_b64 vcc, exec, s[0:1]
	s_cbranch_vccnz .LBB21_1315
; %bb.1314:
	global_load_ushort v1, v[8:9], off
	s_waitcnt vmcnt(0)
	v_cvt_f32_f16_e32 v1, v1
.LBB21_1315:
	s_cbranch_execnz .LBB21_1334
.LBB21_1316:
	s_waitcnt vmcnt(0)
	v_mov_b32_e32 v1, 2
	v_cmp_lt_i16_sdwa s[0:1], s21, v1 src0_sel:BYTE_0 src1_sel:DWORD
	s_and_b64 vcc, exec, s[0:1]
	s_cbranch_vccnz .LBB21_1320
; %bb.1317:
	v_mov_b32_e32 v1, 3
	v_cmp_lt_i16_sdwa s[0:1], s21, v1 src0_sel:BYTE_0 src1_sel:DWORD
	s_and_b64 vcc, exec, s[0:1]
	s_cbranch_vccnz .LBB21_1321
; %bb.1318:
	v_cmp_gt_i16_sdwa s[0:1], s21, v1 src0_sel:BYTE_0 src1_sel:DWORD
	s_and_b64 vcc, exec, s[0:1]
	s_cbranch_vccz .LBB21_1322
; %bb.1319:
	global_load_dwordx2 v[16:17], v[8:9], off
	s_mov_b64 s[0:1], 0
	s_waitcnt vmcnt(0)
	v_xor_b32_e32 v3, v16, v17
	v_ffbh_i32_e32 v1, v17
	v_ashrrev_i32_e32 v3, 31, v3
	v_add_u32_e32 v1, -1, v1
	v_add_u32_e32 v3, 32, v3
	v_min_u32_e32 v1, v1, v3
	v_lshlrev_b64 v[16:17], v1, v[16:17]
	v_min_u32_e32 v3, 1, v16
	v_or_b32_e32 v3, v17, v3
	v_cvt_f32_i32_e32 v3, v3
	v_sub_u32_e32 v1, 32, v1
	v_ldexp_f32 v1, v3, v1
	s_branch .LBB21_1323
.LBB21_1320:
                                        ; implicit-def: $vgpr1
	s_branch .LBB21_1329
.LBB21_1321:
	s_mov_b64 s[0:1], -1
                                        ; implicit-def: $vgpr1
	s_branch .LBB21_1326
.LBB21_1322:
	s_mov_b64 s[0:1], -1
                                        ; implicit-def: $vgpr1
.LBB21_1323:
	s_andn2_b64 vcc, exec, s[0:1]
	s_cbranch_vccnz .LBB21_1325
; %bb.1324:
	global_load_dword v1, v[8:9], off
	s_waitcnt vmcnt(0)
	v_cvt_f32_i32_e32 v1, v1
.LBB21_1325:
	s_mov_b64 s[0:1], 0
.LBB21_1326:
	s_andn2_b64 vcc, exec, s[0:1]
	s_cbranch_vccnz .LBB21_1328
; %bb.1327:
	global_load_sshort v1, v[8:9], off
	s_waitcnt vmcnt(0)
	v_cvt_f32_i32_e32 v1, v1
.LBB21_1328:
	s_cbranch_execnz .LBB21_1334
.LBB21_1329:
	v_mov_b32_e32 v1, 0
	v_cmp_gt_i16_sdwa s[0:1], s21, v1 src0_sel:BYTE_0 src1_sel:DWORD
	s_and_b64 vcc, exec, s[0:1]
	s_cbranch_vccz .LBB21_1331
; %bb.1330:
	global_load_sbyte v1, v[8:9], off
	s_mov_b64 s[0:1], 0
	s_waitcnt vmcnt(0)
	v_cvt_f32_i32_e32 v1, v1
	s_branch .LBB21_1332
.LBB21_1331:
	s_mov_b64 s[0:1], -1
                                        ; implicit-def: $vgpr1
.LBB21_1332:
	s_andn2_b64 vcc, exec, s[0:1]
	s_cbranch_vccnz .LBB21_1334
; %bb.1333:
	global_load_ubyte v1, v[8:9], off
	s_waitcnt vmcnt(0)
	v_cvt_f32_ubyte0_e32 v1, v1
.LBB21_1334:
.LBB21_1335:
	s_waitcnt vmcnt(0)
	v_cmp_gt_f32_e32 vcc, 0, v1
	v_cndmask_b32_e64 v1, v1, -v1, vcc
	s_mov_b32 s0, 0x40a00000
	v_cmp_ge_f32_e32 vcc, s0, v1
	v_mul_f32_e32 v16, v1, v1
                                        ; implicit-def: $vgpr8
	s_and_saveexec_b64 s[0:1], vcc
	s_xor_b64 s[0:1], exec, s[0:1]
	s_cbranch_execz .LBB21_1341
; %bb.1336:
	s_mov_b32 s2, 0x3727c5ac
	v_cmp_ngt_f32_e32 vcc, s2, v1
                                        ; implicit-def: $vgpr8
	s_and_saveexec_b64 s[2:3], vcc
	s_xor_b64 s[2:3], exec, s[2:3]
	s_cbranch_execz .LBB21_1338
; %bb.1337:
	v_mov_b32_e32 v1, 0x43f9c815
	v_fmac_f32_e32 v1, 0, v16
	v_mov_b32_e32 v3, 0x4829b65a
	v_fmac_f32_e32 v3, v16, v1
	;; [unrolled: 2-line block ×4, first 2 shown]
	s_mov_b32 s4, 0xcf8ee29d
	v_mul_f32_e32 v8, 0, v16
	v_mul_f32_e32 v9, v16, v3
	s_mov_b32 s5, 0x53f5f59c
	v_pk_add_f32 v[8:9], v[8:9], s[4:5]
	s_mov_b32 s4, 0x53e3ba8e
	s_mov_b32 s5, 0x578d3514
	v_pk_fma_f32 v[8:9], v[16:17], v[8:9], s[4:5] op_sel_hi:[0,1,1]
	s_mov_b32 s4, 0xd762b0a7
	s_mov_b32 s5, 0x5ae20a0c
	v_pk_fma_f32 v[8:9], v[16:17], v[8:9], s[4:5] op_sel_hi:[0,1,1]
	;; [unrolled: 3-line block ×3, first 2 shown]
	s_mov_b32 s4, 0xc0b90fdc
	s_mov_b32 s5, 0xc1f3c525
	v_pk_add_f32 v[16:17], v[16:17], s[4:5] op_sel_hi:[0,1]
	v_mul_f32_e32 v1, v16, v17
	v_mul_f32_e32 v1, v1, v8
	v_div_scale_f32 v3, s[4:5], v9, v9, v1
	v_rcp_f32_e32 v5, v3
                                        ; implicit-def: $vgpr16
	v_fma_f32 v7, -v3, v5, 1.0
	v_fmac_f32_e32 v5, v7, v5
	v_div_scale_f32 v7, vcc, v1, v9, v1
	v_mul_f32_e32 v8, v7, v5
	v_fma_f32 v11, -v3, v8, v7
	v_fmac_f32_e32 v8, v11, v5
	v_fma_f32 v3, -v3, v8, v7
	v_div_fmas_f32 v3, v3, v5, v8
	v_div_fixup_f32 v8, v3, v9, v1
.LBB21_1338:
	s_andn2_saveexec_b64 s[2:3], s[2:3]
; %bb.1339:
	s_mov_b32 s4, 0xbe800000
	v_fma_f32 v8, v16, s4, 1.0
; %bb.1340:
	s_or_b64 exec, exec, s[2:3]
                                        ; implicit-def: $vgpr16
                                        ; implicit-def: $vgpr1
.LBB21_1341:
	s_andn2_saveexec_b64 s[14:15], s[0:1]
	s_cbranch_execz .LBB21_1351
; %bb.1342:
	v_add_f32_e32 v3, 0xbf490fdb, v1
	s_brev_b32 s0, 18
	v_and_b32_e32 v5, 0x7fffffff, v3
	v_cmp_nlt_f32_e64 s[16:17], |v3|, s0
                                        ; implicit-def: $vgpr7
                                        ; implicit-def: $vgpr8
	s_and_saveexec_b64 s[0:1], s[16:17]
	s_xor_b64 s[18:19], exec, s[0:1]
	s_cbranch_execz .LBB21_1344
; %bb.1343:
	v_lshrrev_b32_e32 v7, 23, v5
	v_add_u32_e32 v7, 0xffffff88, v7
	v_not_b32_e32 v8, 63
	v_cmp_lt_u32_e32 vcc, 63, v7
	v_cndmask_b32_e32 v8, 0, v8, vcc
	v_add_u32_e32 v7, v8, v7
	v_not_b32_e32 v8, 31
	v_cmp_lt_u32_e64 s[0:1], 31, v7
	v_cndmask_b32_e64 v11, 0, v8, s[0:1]
	v_add_u32_e32 v7, v11, v7
	v_cmp_lt_u32_e64 s[2:3], 31, v7
	v_cndmask_b32_e64 v8, 0, v8, s[2:3]
	v_add_u32_e32 v7, v8, v7
	v_and_b32_e32 v8, 0x7fffff, v5
	v_or_b32_e32 v11, 0x800000, v8
	s_mov_b32 s4, 0xfe5163ab
	v_mad_u64_u32 v[18:19], s[4:5], v11, s4, 0
	v_mov_b32_e32 v9, 0
	v_mov_b32_e32 v8, v19
	s_mov_b32 s4, 0x3c439041
	v_mad_u64_u32 v[20:21], s[4:5], v11, s4, v[8:9]
	v_mov_b32_e32 v8, v21
	s_mov_b32 s4, 0xdb629599
	v_mad_u64_u32 v[22:23], s[4:5], v11, s4, v[8:9]
	;; [unrolled: 3-line block ×6, first 2 shown]
	v_cndmask_b32_e32 v13, v28, v24, vcc
	v_cndmask_b32_e32 v8, v8, v26, vcc
	;; [unrolled: 1-line block ×3, first 2 shown]
	v_cndmask_b32_e64 v11, v8, v13, s[0:1]
	v_cndmask_b32_e64 v8, v9, v8, s[0:1]
	v_cndmask_b32_e32 v9, v26, v22, vcc
	v_cndmask_b32_e64 v13, v13, v9, s[0:1]
	v_cndmask_b32_e64 v8, v8, v11, s[2:3]
	;; [unrolled: 1-line block ×3, first 2 shown]
	v_sub_u32_e32 v15, 32, v7
	v_alignbit_b32 v17, v8, v11, v15
	v_cmp_eq_u32_e64 s[4:5], 0, v7
	v_cndmask_b32_e64 v7, v17, v8, s[4:5]
	v_cndmask_b32_e32 v8, v24, v20, vcc
	v_cndmask_b32_e64 v9, v9, v8, s[0:1]
	v_cndmask_b32_e64 v13, v13, v9, s[2:3]
	v_alignbit_b32 v17, v11, v13, v15
	v_cndmask_b32_e32 v18, v22, v18, vcc
	v_cndmask_b32_e64 v11, v17, v11, s[4:5]
	v_bfe_u32 v20, v7, 29, 1
	v_cndmask_b32_e64 v8, v8, v18, s[0:1]
	v_alignbit_b32 v17, v7, v11, 30
	v_sub_u32_e32 v21, 0, v20
	v_cndmask_b32_e64 v8, v9, v8, s[2:3]
	v_xor_b32_e32 v23, v17, v21
	v_alignbit_b32 v9, v13, v8, v15
	v_cndmask_b32_e64 v9, v9, v13, s[4:5]
	v_ffbh_u32_e32 v13, v23
	v_add_u32_e32 v13, 1, v13
	v_cmp_ne_u32_e32 vcc, v17, v21
	v_alignbit_b32 v11, v11, v9, 30
	v_cndmask_b32_e32 v13, 33, v13, vcc
	v_alignbit_b32 v8, v9, v8, 30
	v_xor_b32_e32 v11, v11, v21
	v_sub_u32_e32 v15, 32, v13
	v_xor_b32_e32 v8, v8, v21
	v_alignbit_b32 v17, v23, v11, v15
	v_alignbit_b32 v8, v11, v8, v15
	;; [unrolled: 1-line block ×3, first 2 shown]
	v_ffbh_u32_e32 v11, v9
	v_min_u32_e32 v11, 32, v11
	v_lshrrev_b32_e32 v19, 29, v7
	v_sub_u32_e32 v15, 31, v11
	v_alignbit_b32 v8, v9, v8, v15
	v_lshlrev_b32_e32 v9, 31, v19
	v_or_b32_e32 v15, 0x33800000, v9
	v_add_lshl_u32 v11, v11, v13, 23
	v_lshrrev_b32_e32 v8, 9, v8
	v_sub_u32_e32 v11, v15, v11
	v_or_b32_e32 v8, v11, v8
	v_alignbit_b32 v11, v13, v17, 9
	v_or_b32_e32 v9, v11, v9
	v_xor_b32_e32 v9, 1.0, v9
	s_mov_b32 s0, 0x3fc90fda
	v_mul_f32_e32 v11, 0x3fc90fda, v9
	v_fma_f32 v13, v9, s0, -v11
	v_fmac_f32_e32 v13, 0x33a22168, v9
	v_fmac_f32_e32 v13, 0x3fc90fda, v8
	v_lshrrev_b32_e32 v7, 30, v7
	v_add_f32_e32 v8, v11, v13
	v_add_u32_e32 v7, v20, v7
	s_andn2_saveexec_b64 s[0:1], s[18:19]
	s_branch .LBB21_1345
.LBB21_1344:
	s_andn2_saveexec_b64 s[0:1], s[18:19]
.LBB21_1345:
	s_mov_b32 s2, 0x3f22f983
	v_mul_f32_e64 v7, |v3|, s2
	v_rndne_f32_e32 v9, v7
	s_mov_b32 s2, 0xbfc90fda
	v_cvt_i32_f32_e32 v7, v9
	v_fma_f32 v8, v9, s2, |v3|
	v_fmac_f32_e32 v8, 0xb3a22168, v9
	v_fmac_f32_e32 v8, 0xa7c234c4, v9
; %bb.1346:
	s_or_b64 exec, exec, s[0:1]
                                        ; implicit-def: $vgpr9
                                        ; implicit-def: $vgpr11
	s_and_saveexec_b64 s[0:1], s[16:17]
	s_xor_b64 s[16:17], exec, s[0:1]
	s_cbranch_execz .LBB21_1348
; %bb.1347:
	v_lshrrev_b32_e32 v9, 23, v5
	v_add_u32_e32 v9, 0xffffff88, v9
	v_not_b32_e32 v11, 63
	v_cmp_lt_u32_e32 vcc, 63, v9
	v_cndmask_b32_e32 v11, 0, v11, vcc
	v_add_u32_e32 v9, v11, v9
	v_not_b32_e32 v11, 31
	v_cmp_lt_u32_e64 s[0:1], 31, v9
	v_cndmask_b32_e64 v13, 0, v11, s[0:1]
	v_add_u32_e32 v9, v13, v9
	v_cmp_lt_u32_e64 s[2:3], 31, v9
	v_cndmask_b32_e64 v11, 0, v11, s[2:3]
	v_add_u32_e32 v9, v11, v9
	v_and_b32_e32 v11, 0x7fffff, v5
	v_or_b32_e32 v11, 0x800000, v11
	s_mov_b32 s4, 0xfe5163ab
	v_mad_u64_u32 v[20:21], s[4:5], v11, s4, 0
	v_mov_b32_e32 v19, 0
	v_mov_b32_e32 v18, v21
	s_mov_b32 s4, 0x3c439041
	v_mad_u64_u32 v[22:23], s[4:5], v11, s4, v[18:19]
	v_mov_b32_e32 v18, v23
	s_mov_b32 s4, 0xdb629599
	v_mad_u64_u32 v[24:25], s[4:5], v11, s4, v[18:19]
	;; [unrolled: 3-line block ×6, first 2 shown]
	v_cndmask_b32_e32 v13, v30, v26, vcc
	v_cndmask_b32_e32 v11, v18, v28, vcc
	v_cndmask_b32_e32 v17, v19, v30, vcc
	v_cndmask_b32_e64 v15, v11, v13, s[0:1]
	v_cndmask_b32_e64 v11, v17, v11, s[0:1]
	v_cndmask_b32_e32 v17, v28, v24, vcc
	v_cndmask_b32_e64 v13, v13, v17, s[0:1]
	v_cndmask_b32_e64 v11, v11, v15, s[2:3]
	;; [unrolled: 1-line block ×3, first 2 shown]
	v_sub_u32_e32 v18, 32, v9
	v_alignbit_b32 v19, v11, v15, v18
	v_cmp_eq_u32_e64 s[4:5], 0, v9
	v_cndmask_b32_e64 v9, v19, v11, s[4:5]
	v_cndmask_b32_e32 v11, v26, v22, vcc
	v_cndmask_b32_e64 v17, v17, v11, s[0:1]
	v_cndmask_b32_e64 v13, v13, v17, s[2:3]
	v_alignbit_b32 v19, v15, v13, v18
	v_cndmask_b32_e32 v20, v24, v20, vcc
	v_cndmask_b32_e64 v15, v19, v15, s[4:5]
	v_bfe_u32 v22, v9, 29, 1
	v_cndmask_b32_e64 v11, v11, v20, s[0:1]
	v_alignbit_b32 v19, v9, v15, 30
	v_sub_u32_e32 v23, 0, v22
	v_cndmask_b32_e64 v11, v17, v11, s[2:3]
	v_xor_b32_e32 v25, v19, v23
	v_alignbit_b32 v17, v13, v11, v18
	v_cndmask_b32_e64 v13, v17, v13, s[4:5]
	v_ffbh_u32_e32 v17, v25
	v_add_u32_e32 v17, 1, v17
	v_cmp_ne_u32_e32 vcc, v19, v23
	v_alignbit_b32 v15, v15, v13, 30
	v_cndmask_b32_e32 v17, 33, v17, vcc
	v_alignbit_b32 v11, v13, v11, 30
	v_xor_b32_e32 v15, v15, v23
	v_sub_u32_e32 v18, 32, v17
	v_xor_b32_e32 v11, v11, v23
	v_alignbit_b32 v19, v25, v15, v18
	v_alignbit_b32 v11, v15, v11, v18
	;; [unrolled: 1-line block ×3, first 2 shown]
	v_ffbh_u32_e32 v15, v13
	v_min_u32_e32 v15, 32, v15
	v_lshrrev_b32_e32 v21, 29, v9
	v_sub_u32_e32 v18, 31, v15
	v_alignbit_b32 v11, v13, v11, v18
	v_lshlrev_b32_e32 v13, 31, v21
	v_or_b32_e32 v18, 0x33800000, v13
	v_add_lshl_u32 v15, v15, v17, 23
	v_lshrrev_b32_e32 v11, 9, v11
	v_sub_u32_e32 v15, v18, v15
	v_or_b32_e32 v11, v15, v11
	v_alignbit_b32 v15, v17, v19, 9
	v_or_b32_e32 v13, v15, v13
	v_xor_b32_e32 v13, 1.0, v13
	s_mov_b32 s0, 0x3fc90fda
	v_mul_f32_e32 v15, 0x3fc90fda, v13
	v_fma_f32 v17, v13, s0, -v15
	v_fmac_f32_e32 v17, 0x33a22168, v13
	v_fmac_f32_e32 v17, 0x3fc90fda, v11
	v_lshrrev_b32_e32 v9, 30, v9
	v_add_f32_e32 v11, v15, v17
	v_add_u32_e32 v9, v22, v9
	s_andn2_saveexec_b64 s[0:1], s[16:17]
	s_cbranch_execnz .LBB21_1349
	s_branch .LBB21_1350
.LBB21_1348:
	s_andn2_saveexec_b64 s[0:1], s[16:17]
.LBB21_1349:
	s_mov_b32 s2, 0x3f22f983
	v_mul_f32_e64 v9, |v3|, s2
	v_rndne_f32_e32 v13, v9
	s_mov_b32 s2, 0xbfc90fda
	v_cvt_i32_f32_e32 v9, v13
	v_fma_f32 v11, v13, s2, |v3|
	v_fmac_f32_e32 v11, 0xb3a22168, v13
	v_fmac_f32_e32 v11, 0xa7c234c4, v13
.LBB21_1350:
	s_or_b64 exec, exec, s[0:1]
	s_mov_b32 s2, 0x41c80000
	v_div_scale_f32 v13, s[0:1], v16, v16, s2
	v_rcp_f32_e32 v15, v13
	v_div_scale_f32 v17, vcc, s2, v16, s2
	v_mov_b32_e32 v23, 0xbf000004
	v_fma_f32 v18, -v13, v15, 1.0
	v_fmac_f32_e32 v15, v18, v15
	v_mul_f32_e32 v18, v17, v15
	v_fma_f32 v19, -v13, v18, v17
	v_fmac_f32_e32 v18, v19, v15
	v_fma_f32 v13, -v13, v18, v17
	v_div_fmas_f32 v13, v13, v15, v18
	v_div_fixup_f32 v13, v13, v16, s2
	v_mov_b32_e32 v15, 0x3a50e985
	v_fmac_f32_e32 v15, 0, v13
	v_mov_b32_e32 v16, 0x3da9a586
	v_fmac_f32_e32 v16, v13, v15
	;; [unrolled: 2-line block ×12, first 2 shown]
	v_fma_f32 v15, v13, v17, 1.0
	v_mov_b32_e32 v17, 0xbc3a3a12
	v_fmac_f32_e32 v17, 0, v13
	v_mov_b32_e32 v18, 0xbfa429da
	v_fmac_f32_e32 v18, v13, v17
	;; [unrolled: 2-line block ×9, first 2 shown]
	v_mov_b32_e32 v19, 0x44561b86
	v_fma_f32 v16, v13, v16, 1.0
	v_fmac_f32_e32 v19, v13, v17
	v_mov_b32_e32 v17, 0x4572a66e
	v_div_scale_f32 v20, s[0:1], v15, v15, v16
	v_fmac_f32_e32 v17, v13, v19
	v_mov_b32_e32 v19, 0x45e243be
	v_rcp_f32_e32 v21, v20
	v_fmac_f32_e32 v19, v13, v17
	v_mov_b32_e32 v17, 0x45b955d1
	v_fmac_f32_e32 v17, v13, v19
	v_mov_b32_e32 v19, 0x4500e17e
	;; [unrolled: 2-line block ×3, first 2 shown]
	v_fmac_f32_e32 v17, v13, v19
	v_fma_f32 v13, -v20, v21, 1.0
	v_fmac_f32_e32 v21, v13, v21
	v_div_scale_f32 v13, vcc, v16, v15, v16
	v_mul_f32_e32 v19, v13, v21
	v_fma_f32 v22, -v20, v19, v13
	v_fmac_f32_e32 v19, v22, v21
	v_fma_f32 v13, -v20, v19, v13
	v_div_fmas_f32 v13, v13, v21, v19
	v_div_fixup_f32 v13, v13, v15, v16
	v_mul_f32_e32 v15, v8, v8
	v_mov_b32_e32 v21, 0xbab64f3b
	v_mov_b32_e32 v19, 0x3c0881c4
	v_fmac_f32_e32 v21, 0x37d75334, v15
	v_mov_b32_e32 v22, 0x3d2aabf7
	v_fmac_f32_e32 v19, 0xb94c1982, v15
	v_mov_b32_e32 v20, 0xbe2aaa9d
	v_fma_f32 v21, v15, v21, v22
	v_fma_f32 v19, v15, v19, v20
	;; [unrolled: 1-line block ×3, first 2 shown]
	v_mul_f32_e32 v19, v15, v19
	v_fma_f32 v15, v15, v21, 1.0
	v_and_b32_e32 v21, 1, v7
	v_fmac_f32_e32 v8, v8, v19
	v_cmp_eq_u32_e32 vcc, 0, v21
	v_lshlrev_b32_e32 v7, 30, v7
	v_cndmask_b32_e64 v8, -v8, v15, vcc
	v_and_b32_e32 v7, 0x80000000, v7
	s_mov_b32 s4, 0xc0a00000
	v_xor_b32_e32 v7, v7, v8
	v_div_scale_f32 v8, s[0:1], v1, v1, s4
	v_rcp_f32_e32 v15, v8
	s_movk_i32 s2, 0x1f8
	v_cmp_class_f32_e64 s[0:1], v3, s2
	v_mov_b32_e32 v16, 0x3c0881c4
	v_fma_f32 v24, -v8, v15, 1.0
	v_fmac_f32_e32 v15, v24, v15
	v_div_scale_f32 v24, vcc, s4, v1, s4
	v_mul_f32_e32 v25, v24, v15
	v_fma_f32 v26, -v8, v25, v24
	v_fmac_f32_e32 v25, v26, v15
	v_fma_f32 v8, -v8, v25, v24
	v_div_scale_f32 v24, s[2:3], v17, v17, v18
	v_rcp_f32_e32 v26, v24
	v_div_fmas_f32 v8, v8, v15, v25
	v_div_fixup_f32 v8, v8, v1, s4
	v_mov_b32_e32 v19, 0xbab64f3b
	v_fma_f32 v15, -v24, v26, 1.0
	v_fmac_f32_e32 v26, v15, v26
	v_div_scale_f32 v15, vcc, v18, v17, v18
	v_mul_f32_e32 v25, v15, v26
	v_fma_f32 v27, -v24, v25, v15
	v_fmac_f32_e32 v25, v27, v26
	v_fma_f32 v15, -v24, v25, v15
	v_div_fmas_f32 v15, v15, v26, v25
	v_div_fixup_f32 v15, v15, v17, v18
	v_mul_f32_e32 v8, v8, v15
	v_mul_f32_e32 v15, v11, v11
	v_fmac_f32_e32 v16, 0xb94c1982, v15
	v_fmac_f32_e32 v20, v15, v16
	;; [unrolled: 1-line block ×3, first 2 shown]
	v_mul_f32_e32 v16, v15, v20
	v_fmac_f32_e32 v22, v15, v19
	v_fmac_f32_e32 v11, v11, v16
	;; [unrolled: 1-line block ×3, first 2 shown]
	v_and_b32_e32 v16, 1, v9
	v_lshlrev_b32_e32 v9, 30, v9
	v_fma_f32 v15, v15, v23, 1.0
	v_cmp_eq_u32_e32 vcc, 0, v16
	v_and_b32_e32 v9, 0x80000000, v9
	v_xor_b32_e32 v3, v5, v3
	v_cndmask_b32_e32 v11, v15, v11, vcc
	v_xor_b32_e32 v3, v3, v9
	v_mov_b32_e32 v21, 0x7fc00000
	v_xor_b32_e32 v3, v3, v11
	v_cndmask_b32_e64 v7, v21, v7, s[0:1]
	v_cndmask_b32_e64 v3, v21, v3, s[0:1]
	s_mov_b32 s0, 0xf800000
	v_mul_f32_e32 v5, 0x4f800000, v1
	v_cmp_gt_f32_e32 vcc, s0, v1
	v_cndmask_b32_e32 v1, v1, v5, vcc
	v_sqrt_f32_e32 v5, v1
	v_mul_f32_e32 v3, v8, v3
	v_fmac_f32_e32 v3, v13, v7
	v_mul_f32_e32 v3, 0x3f4c422a, v3
	v_add_u32_e32 v7, -1, v5
	v_fma_f32 v8, -v7, v5, v1
	v_cmp_ge_f32_e64 s[0:1], 0, v8
	v_add_u32_e32 v8, 1, v5
	v_cndmask_b32_e64 v7, v5, v7, s[0:1]
	v_fma_f32 v5, -v8, v5, v1
	v_cmp_lt_f32_e64 s[0:1], 0, v5
	v_cndmask_b32_e64 v5, v7, v8, s[0:1]
	v_mul_f32_e32 v7, 0x37800000, v5
	v_cndmask_b32_e32 v5, v5, v7, vcc
	v_mov_b32_e32 v7, 0x260
	v_cmp_class_f32_e32 vcc, v1, v7
	v_cndmask_b32_e32 v1, v5, v1, vcc
	v_div_scale_f32 v5, s[0:1], v1, v1, v3
	v_rcp_f32_e32 v7, v5
	v_fma_f32 v8, -v5, v7, 1.0
	v_fmac_f32_e32 v7, v8, v7
	v_div_scale_f32 v8, vcc, v3, v1, v3
	v_mul_f32_e32 v9, v8, v7
	v_fma_f32 v11, -v5, v9, v8
	v_fmac_f32_e32 v9, v11, v7
	v_fma_f32 v5, -v5, v9, v8
	v_div_fmas_f32 v5, v5, v7, v9
	v_div_fixup_f32 v8, v5, v1, v3
.LBB21_1351:
	s_or_b64 exec, exec, s[14:15]
	v_mov_b32_e32 v1, s11
	v_add_co_u32_e32 v10, vcc, s10, v10
	v_addc_co_u32_e32 v11, vcc, 0, v1, vcc
	v_mov_b32_e32 v1, 11
	v_cmp_lt_i16_sdwa s[0:1], s21, v1 src0_sel:BYTE_0 src1_sel:DWORD
	s_and_b64 vcc, exec, s[0:1]
	s_cbranch_vccnz .LBB21_1358
; %bb.1352:
	v_mov_b32_e32 v1, 25
	v_cmp_gt_i16_sdwa s[0:1], s21, v1 src0_sel:BYTE_0 src1_sel:DWORD
	s_mov_b64 s[2:3], 0
	s_and_b64 vcc, exec, s[0:1]
	s_cbranch_vccz .LBB21_1360
; %bb.1353:
	v_mov_b32_e32 v1, 28
	v_cmp_gt_i16_sdwa s[0:1], s21, v1 src0_sel:BYTE_0 src1_sel:DWORD
	s_and_b64 vcc, exec, s[0:1]
	s_cbranch_vccz .LBB21_1361
; %bb.1354:
	v_mov_b32_e32 v1, 43
	v_cmp_gt_i16_sdwa s[0:1], s21, v1 src0_sel:BYTE_0 src1_sel:DWORD
	;; [unrolled: 5-line block ×3, first 2 shown]
	s_and_b64 vcc, exec, s[0:1]
	s_cbranch_vccz .LBB21_1364
; %bb.1356:
	v_mov_b32_e32 v1, 46
	v_cmp_eq_u16_sdwa s[0:1], s21, v1 src0_sel:BYTE_0 src1_sel:DWORD
	s_mov_b64 s[14:15], 0
	s_and_b64 vcc, exec, s[0:1]
	s_cbranch_vccz .LBB21_1367
; %bb.1357:
	global_load_dword v1, v[10:11], off
	s_mov_b64 s[0:1], 0
	s_mov_b64 s[4:5], -1
	s_waitcnt vmcnt(0)
	v_lshlrev_b32_e32 v1, 16, v1
	s_branch .LBB21_1368
.LBB21_1358:
	s_mov_b64 s[4:5], 0
                                        ; implicit-def: $vgpr1
	s_cbranch_execnz .LBB21_1433
.LBB21_1359:
	s_andn2_b64 vcc, exec, s[4:5]
	s_cbranch_vccnz .LBB21_1780
	s_branch .LBB21_1480
.LBB21_1360:
	s_mov_b64 s[4:5], 0
	s_mov_b64 s[0:1], 0
                                        ; implicit-def: $vgpr1
	s_cbranch_execnz .LBB21_1397
	s_branch .LBB21_1429
.LBB21_1361:
	s_mov_b64 s[14:15], -1
	s_mov_b64 s[4:5], 0
	s_mov_b64 s[0:1], 0
                                        ; implicit-def: $vgpr1
	s_branch .LBB21_1378
.LBB21_1362:
	s_mov_b64 s[14:15], -1
	s_mov_b64 s[4:5], 0
	s_mov_b64 s[0:1], 0
                                        ; implicit-def: $vgpr1
	s_branch .LBB21_1373
.LBB21_1363:
	s_or_b64 s[12:13], s[6:7], exec
	s_trap 2
                                        ; implicit-def: $vgpr1
	s_cbranch_execz .LBB21_1288
	s_branch .LBB21_1289
.LBB21_1364:
	s_mov_b64 s[14:15], -1
	s_mov_b64 s[4:5], 0
	s_mov_b64 s[0:1], 0
                                        ; implicit-def: $vgpr1
	s_branch .LBB21_1368
.LBB21_1365:
	s_or_saveexec_b64 s[14:15], s[14:15]
                                        ; implicit-def: $sgpr16
	s_xor_b64 exec, exec, s[14:15]
	s_cbranch_execz .LBB21_1079
.LBB21_1366:
	s_mov_b32 s16, 0x42800000
	v_add_f32_e64 v0, |v2|, s16
	v_and_b32_e32 v0, 0xff, v0
	v_cmp_ne_u32_e32 vcc, 0, v0
	s_andn2_b64 s[12:13], s[12:13], exec
	s_and_b64 s[18:19], vcc, exec
	s_mov_b32 s16, 0
	s_or_b64 s[12:13], s[12:13], s[18:19]
	s_or_b64 exec, exec, s[14:15]
	v_mov_b32_e32 v3, s16
	s_and_saveexec_b64 s[14:15], s[12:13]
	s_cbranch_execnz .LBB21_1080
	s_branch .LBB21_1081
.LBB21_1367:
	s_mov_b64 s[0:1], -1
                                        ; implicit-def: $vgpr1
	s_mov_b64 s[4:5], 0
.LBB21_1368:
	s_and_b64 vcc, exec, s[14:15]
	s_cbranch_vccz .LBB21_1372
; %bb.1369:
	v_mov_b32_e32 v1, 44
	v_cmp_eq_u16_sdwa s[0:1], s21, v1 src0_sel:BYTE_0 src1_sel:DWORD
	s_and_b64 vcc, exec, s[0:1]
	s_cbranch_vccz .LBB21_1371
; %bb.1370:
	global_load_ubyte v1, v[10:11], off
	s_movk_i32 s4, 0xff
	v_mov_b32_e32 v3, 0x7f800001
	v_mov_b32_e32 v5, 0x400000
	s_mov_b64 s[0:1], 0
	s_waitcnt vmcnt(0)
	v_lshlrev_b32_e32 v7, 23, v1
	v_cmp_ne_u32_e32 vcc, s4, v1
	v_cndmask_b32_e32 v3, v3, v7, vcc
	v_cmp_ne_u32_e32 vcc, 0, v1
	v_cndmask_b32_e32 v1, v5, v3, vcc
	s_mov_b64 s[4:5], -1
	s_branch .LBB21_1372
.LBB21_1371:
	s_mov_b64 s[0:1], -1
                                        ; implicit-def: $vgpr1
.LBB21_1372:
	s_mov_b64 s[14:15], 0
.LBB21_1373:
	s_and_b64 vcc, exec, s[14:15]
	s_cbranch_vccz .LBB21_1377
; %bb.1374:
	v_mov_b32_e32 v1, 29
	v_cmp_eq_u16_sdwa s[0:1], s21, v1 src0_sel:BYTE_0 src1_sel:DWORD
	s_and_b64 vcc, exec, s[0:1]
	s_cbranch_vccz .LBB21_1376
; %bb.1375:
	global_load_dwordx2 v[16:17], v[10:11], off
	s_mov_b64 s[0:1], 0
	s_mov_b64 s[4:5], -1
	s_mov_b64 s[14:15], 0
	s_waitcnt vmcnt(0)
	v_ffbh_u32_e32 v1, v17
	v_min_u32_e32 v1, 32, v1
	v_lshlrev_b64 v[16:17], v1, v[16:17]
	v_min_u32_e32 v3, 1, v16
	v_or_b32_e32 v3, v17, v3
	v_cvt_f32_u32_e32 v3, v3
	v_sub_u32_e32 v1, 32, v1
	v_ldexp_f32 v1, v3, v1
	s_branch .LBB21_1378
.LBB21_1376:
	s_mov_b64 s[0:1], -1
                                        ; implicit-def: $vgpr1
.LBB21_1377:
	s_mov_b64 s[14:15], 0
.LBB21_1378:
	s_and_b64 vcc, exec, s[14:15]
	s_cbranch_vccz .LBB21_1396
; %bb.1379:
	v_mov_b32_e32 v1, 27
	v_cmp_lt_i16_sdwa s[4:5], s21, v1 src0_sel:BYTE_0 src1_sel:DWORD
	s_and_b64 vcc, exec, s[4:5]
	s_cbranch_vccnz .LBB21_1382
; %bb.1380:
	v_cmp_gt_i16_sdwa s[4:5], s21, v1 src0_sel:BYTE_0 src1_sel:DWORD
	s_and_b64 vcc, exec, s[4:5]
	s_cbranch_vccz .LBB21_1383
; %bb.1381:
	global_load_dword v1, v[10:11], off
	s_mov_b64 s[4:5], 0
	s_waitcnt vmcnt(0)
	v_cvt_f32_u32_e32 v1, v1
	s_branch .LBB21_1384
.LBB21_1382:
	s_mov_b64 s[4:5], -1
                                        ; implicit-def: $vgpr1
	s_branch .LBB21_1387
.LBB21_1383:
	s_mov_b64 s[4:5], -1
                                        ; implicit-def: $vgpr1
.LBB21_1384:
	s_andn2_b64 vcc, exec, s[4:5]
	s_cbranch_vccnz .LBB21_1386
; %bb.1385:
	global_load_ushort v1, v[10:11], off
	s_waitcnt vmcnt(0)
	v_cvt_f32_u32_e32 v1, v1
.LBB21_1386:
	s_mov_b64 s[4:5], 0
.LBB21_1387:
	s_andn2_b64 vcc, exec, s[4:5]
	s_cbranch_vccnz .LBB21_1395
; %bb.1388:
	global_load_ubyte v3, v[10:11], off
	s_movk_i32 s4, 0x7f
                                        ; implicit-def: $sgpr18
	s_waitcnt vmcnt(0)
	v_cmp_lt_i16_e32 vcc, s4, v3
	s_mov_b64 s[4:5], 0
	s_and_saveexec_b64 s[14:15], vcc
	s_xor_b64 s[14:15], exec, s[14:15]
	s_cbranch_execz .LBB21_1408
; %bb.1389:
	s_movk_i32 s4, 0x80
	v_cmp_eq_u16_e32 vcc, s4, v3
	s_mov_b64 s[4:5], -1
                                        ; implicit-def: $sgpr18
	s_and_saveexec_b64 s[16:17], vcc
; %bb.1390:
	s_mov_b32 s18, 0x7f800001
	s_xor_b64 s[4:5], exec, -1
; %bb.1391:
	s_or_b64 exec, exec, s[16:17]
	s_and_b64 s[4:5], s[4:5], exec
	s_or_saveexec_b64 s[14:15], s[14:15]
	v_mov_b32_e32 v1, s18
	s_xor_b64 exec, exec, s[14:15]
	s_cbranch_execnz .LBB21_1409
.LBB21_1392:
	s_or_b64 exec, exec, s[14:15]
	s_and_saveexec_b64 s[14:15], s[4:5]
	s_cbranch_execz .LBB21_1394
.LBB21_1393:
	v_lshlrev_b32_e32 v1, 24, v3
	v_and_b32_e32 v3, 0xffff, v3
	v_and_b32_e32 v5, 7, v3
	v_ffbh_u32_e32 v9, v5
	v_min_u32_e32 v9, 32, v9
	v_subrev_u32_e32 v13, 28, v9
	v_bfe_u32 v7, v3, 3, 4
	v_lshlrev_b32_e32 v3, v13, v3
	v_sub_u32_e32 v9, 29, v9
	v_and_b32_e32 v3, 7, v3
	v_cmp_eq_u32_e32 vcc, 0, v7
	v_cndmask_b32_e32 v7, v7, v9, vcc
	v_cndmask_b32_e32 v3, v5, v3, vcc
	v_mov_b32_e32 v5, 0x3b800000
	v_lshlrev_b32_e32 v3, 20, v3
	v_and_b32_e32 v1, 0x80000000, v1
	v_lshl_add_u32 v5, v7, 23, v5
	v_or3_b32 v1, v1, v5, v3
.LBB21_1394:
	s_or_b64 exec, exec, s[14:15]
.LBB21_1395:
	s_mov_b64 s[4:5], -1
.LBB21_1396:
	s_branch .LBB21_1429
.LBB21_1397:
	v_mov_b32_e32 v1, 22
	v_cmp_gt_i16_sdwa s[2:3], s21, v1 src0_sel:BYTE_0 src1_sel:DWORD
	s_and_b64 vcc, exec, s[2:3]
	s_cbranch_vccz .LBB21_1407
; %bb.1398:
	v_mov_b32_e32 v1, 24
	v_cmp_lt_i16_sdwa s[2:3], s21, v1 src0_sel:BYTE_0 src1_sel:DWORD
	s_and_b64 vcc, exec, s[2:3]
	s_cbranch_vccnz .LBB21_1410
; %bb.1399:
	v_cmp_gt_i16_sdwa s[2:3], s21, v1 src0_sel:BYTE_0 src1_sel:DWORD
	s_and_b64 vcc, exec, s[2:3]
	s_cbranch_vccz .LBB21_1411
; %bb.1400:
	global_load_ubyte v3, v[10:11], off
	s_movk_i32 s2, 0x7f
                                        ; implicit-def: $sgpr16
	s_waitcnt vmcnt(0)
	v_cmp_lt_i16_e32 vcc, s2, v3
	s_mov_b64 s[2:3], 0
	s_and_saveexec_b64 s[4:5], vcc
	s_xor_b64 s[4:5], exec, s[4:5]
	s_cbranch_execz .LBB21_1423
; %bb.1401:
	s_movk_i32 s2, 0x80
	v_cmp_eq_u16_e32 vcc, s2, v3
	s_mov_b64 s[2:3], -1
                                        ; implicit-def: $sgpr16
	s_and_saveexec_b64 s[14:15], vcc
; %bb.1402:
	s_mov_b32 s16, 0x7f800001
	s_xor_b64 s[2:3], exec, -1
; %bb.1403:
	s_or_b64 exec, exec, s[14:15]
	s_and_b64 s[2:3], s[2:3], exec
	s_or_saveexec_b64 s[4:5], s[4:5]
	v_mov_b32_e32 v1, s16
	s_xor_b64 exec, exec, s[4:5]
	s_cbranch_execnz .LBB21_1424
.LBB21_1404:
	s_or_b64 exec, exec, s[4:5]
	s_and_saveexec_b64 s[4:5], s[2:3]
	s_cbranch_execz .LBB21_1406
.LBB21_1405:
	v_lshlrev_b32_e32 v1, 24, v3
	v_and_b32_e32 v3, 0xffff, v3
	v_and_b32_e32 v5, 3, v3
	v_ffbh_u32_e32 v9, v5
	v_min_u32_e32 v9, 32, v9
	v_subrev_u32_e32 v13, 29, v9
	v_bfe_u32 v7, v3, 2, 5
	v_lshlrev_b32_e32 v3, v13, v3
	v_sub_u32_e32 v9, 30, v9
	v_and_b32_e32 v3, 3, v3
	v_cmp_eq_u32_e32 vcc, 0, v7
	v_cndmask_b32_e32 v7, v7, v9, vcc
	v_cndmask_b32_e32 v3, v5, v3, vcc
	v_mov_b32_e32 v5, 0x37800000
	v_lshlrev_b32_e32 v3, 21, v3
	v_and_b32_e32 v1, 0x80000000, v1
	v_lshl_add_u32 v5, v7, 23, v5
	v_or3_b32 v1, v1, v5, v3
.LBB21_1406:
	s_or_b64 exec, exec, s[4:5]
	s_mov_b64 s[2:3], 0
	s_branch .LBB21_1412
.LBB21_1407:
	s_mov_b64 s[2:3], -1
                                        ; implicit-def: $vgpr1
	s_branch .LBB21_1418
.LBB21_1408:
	s_or_saveexec_b64 s[14:15], s[14:15]
	v_mov_b32_e32 v1, s18
	s_xor_b64 exec, exec, s[14:15]
	s_cbranch_execz .LBB21_1392
.LBB21_1409:
	v_cmp_ne_u16_e32 vcc, 0, v3
	s_andn2_b64 s[4:5], s[4:5], exec
	s_and_b64 s[16:17], vcc, exec
	v_mov_b32_e32 v1, 0
	s_or_b64 s[4:5], s[4:5], s[16:17]
	s_or_b64 exec, exec, s[14:15]
	s_and_saveexec_b64 s[14:15], s[4:5]
	s_cbranch_execnz .LBB21_1393
	s_branch .LBB21_1394
.LBB21_1410:
	s_mov_b64 s[2:3], -1
                                        ; implicit-def: $vgpr1
	s_branch .LBB21_1415
.LBB21_1411:
	s_mov_b64 s[2:3], -1
                                        ; implicit-def: $vgpr1
.LBB21_1412:
	s_and_b64 vcc, exec, s[2:3]
	s_cbranch_vccz .LBB21_1414
; %bb.1413:
	global_load_ubyte v1, v[10:11], off
	s_mov_b32 s2, 0x7f800000
	s_waitcnt vmcnt(0)
	v_lshlrev_b32_e32 v1, 24, v1
	v_and_b32_e32 v3, 0x7f000000, v1
	v_ffbh_u32_e32 v5, v3
	v_min_u32_e32 v5, 32, v5
	v_sub_u32_e64 v5, v5, 4 clamp
	v_lshlrev_b32_e32 v9, v5, v3
	v_lshlrev_b32_e32 v5, 23, v5
	v_lshrrev_b32_e32 v9, 4, v9
	v_add_u32_e32 v7, 0x1000000, v3
	v_sub_u32_e32 v5, v9, v5
	v_ashrrev_i32_e32 v7, 8, v7
	v_add_u32_e32 v5, 0x3c000000, v5
	v_and_or_b32 v5, v7, s2, v5
	v_cmp_ne_u32_e32 vcc, 0, v3
	v_cndmask_b32_e32 v3, 0, v5, vcc
	s_brev_b32 s2, 1
	v_and_or_b32 v1, v1, s2, v3
.LBB21_1414:
	s_mov_b64 s[2:3], 0
.LBB21_1415:
	s_andn2_b64 vcc, exec, s[2:3]
	s_cbranch_vccnz .LBB21_1417
; %bb.1416:
	global_load_ubyte v1, v[10:11], off
	s_movk_i32 s2, 0x7f00
	s_brev_b32 s3, 16
	s_waitcnt vmcnt(0)
	v_lshlrev_b16_e32 v3, 8, v1
	v_lshlrev_b32_e32 v1, 25, v1
	v_lshrrev_b32_e32 v5, 4, v1
	v_and_or_b32 v7, v3, s2, 0.5
	v_or_b32_e32 v5, 0x70000000, v5
	v_add_f32_e32 v7, -0.5, v7
	v_mul_f32_e32 v5, 0x7800000, v5
	v_cmp_gt_u32_e32 vcc, s3, v1
	v_bfe_i32 v3, v3, 0, 16
	v_cndmask_b32_e32 v1, v5, v7, vcc
	s_brev_b32 s2, 1
	v_and_or_b32 v1, v3, s2, v1
.LBB21_1417:
	s_mov_b64 s[2:3], 0
	s_mov_b64 s[4:5], -1
.LBB21_1418:
	s_andn2_b64 vcc, exec, s[2:3]
	s_mov_b64 s[2:3], 0
	s_cbranch_vccnz .LBB21_1429
; %bb.1419:
	v_mov_b32_e32 v1, 14
	v_cmp_gt_i16_sdwa s[2:3], s21, v1 src0_sel:BYTE_0 src1_sel:DWORD
	s_and_b64 vcc, exec, s[2:3]
	s_cbranch_vccz .LBB21_1422
; %bb.1420:
	v_mov_b32_e32 v1, 15
	v_cmp_eq_u16_sdwa s[0:1], s21, v1 src0_sel:BYTE_0 src1_sel:DWORD
	s_and_b64 vcc, exec, s[0:1]
	s_cbranch_vccz .LBB21_1425
; %bb.1421:
	global_load_ushort v1, v[10:11], off
	s_mov_b64 s[0:1], 0
	s_mov_b64 s[4:5], -1
	s_waitcnt vmcnt(0)
	v_lshlrev_b32_e32 v1, 16, v1
	s_branch .LBB21_1426
.LBB21_1422:
	s_mov_b64 s[14:15], -1
                                        ; implicit-def: $vgpr1
	s_branch .LBB21_1427
.LBB21_1423:
	s_or_saveexec_b64 s[4:5], s[4:5]
	v_mov_b32_e32 v1, s16
	s_xor_b64 exec, exec, s[4:5]
	s_cbranch_execz .LBB21_1404
.LBB21_1424:
	v_cmp_ne_u16_e32 vcc, 0, v3
	s_andn2_b64 s[2:3], s[2:3], exec
	s_and_b64 s[14:15], vcc, exec
	v_mov_b32_e32 v1, 0
	s_or_b64 s[2:3], s[2:3], s[14:15]
	s_or_b64 exec, exec, s[4:5]
	s_and_saveexec_b64 s[4:5], s[2:3]
	s_cbranch_execnz .LBB21_1405
	s_branch .LBB21_1406
.LBB21_1425:
	s_mov_b64 s[0:1], -1
                                        ; implicit-def: $vgpr1
.LBB21_1426:
	s_mov_b64 s[14:15], 0
.LBB21_1427:
	s_mov_b64 s[2:3], 0
	s_and_b64 vcc, exec, s[14:15]
	s_cbranch_vccz .LBB21_1429
; %bb.1428:
	v_mov_b32_e32 v1, 11
	v_cmp_ne_u16_sdwa s[0:1], s21, v1 src0_sel:BYTE_0 src1_sel:DWORD
	s_mov_b64 s[2:3], -1
                                        ; implicit-def: $vgpr1
.LBB21_1429:
	s_and_b64 vcc, exec, s[0:1]
	s_cbranch_vccnz .LBB21_1508
; %bb.1430:
	s_andn2_b64 vcc, exec, s[2:3]
	s_cbranch_vccnz .LBB21_1432
.LBB21_1431:
	global_load_ubyte v1, v[10:11], off
	s_mov_b64 s[4:5], -1
	s_waitcnt vmcnt(0)
	v_cmp_ne_u16_e32 vcc, 0, v1
	v_cndmask_b32_e64 v1, 0, 1.0, vcc
.LBB21_1432:
	s_branch .LBB21_1359
.LBB21_1433:
	v_mov_b32_e32 v1, 5
	v_cmp_lt_i16_sdwa s[0:1], s21, v1 src0_sel:BYTE_0 src1_sel:DWORD
	s_and_b64 vcc, exec, s[0:1]
	s_cbranch_vccnz .LBB21_1438
; %bb.1434:
	v_mov_b32_e32 v1, 8
	v_cmp_lt_i16_sdwa s[0:1], s21, v1 src0_sel:BYTE_0 src1_sel:DWORD
	s_and_b64 vcc, exec, s[0:1]
	s_cbranch_vccnz .LBB21_1439
; %bb.1435:
	;; [unrolled: 5-line block ×3, first 2 shown]
	v_cmp_gt_i16_sdwa s[0:1], s21, v1 src0_sel:BYTE_0 src1_sel:DWORD
	s_and_b64 vcc, exec, s[0:1]
	s_cbranch_vccz .LBB21_1441
; %bb.1437:
	global_load_dwordx2 v[16:17], v[10:11], off
	s_mov_b64 s[0:1], 0
	s_waitcnt vmcnt(0)
	v_cvt_f32_f64_e32 v1, v[16:17]
	s_branch .LBB21_1442
.LBB21_1438:
                                        ; implicit-def: $vgpr1
	s_branch .LBB21_1460
.LBB21_1439:
	s_mov_b64 s[0:1], -1
                                        ; implicit-def: $vgpr1
	s_branch .LBB21_1448
.LBB21_1440:
	s_mov_b64 s[0:1], -1
                                        ; implicit-def: $vgpr1
	s_branch .LBB21_1445
.LBB21_1441:
	s_mov_b64 s[0:1], -1
                                        ; implicit-def: $vgpr1
.LBB21_1442:
	s_andn2_b64 vcc, exec, s[0:1]
	s_cbranch_vccnz .LBB21_1444
; %bb.1443:
	global_load_dword v1, v[10:11], off
.LBB21_1444:
	s_mov_b64 s[0:1], 0
.LBB21_1445:
	s_andn2_b64 vcc, exec, s[0:1]
	s_cbranch_vccnz .LBB21_1447
; %bb.1446:
	global_load_dword v1, v[10:11], off
	s_waitcnt vmcnt(0)
	v_cvt_f32_f16_e32 v1, v1
.LBB21_1447:
	s_mov_b64 s[0:1], 0
.LBB21_1448:
	s_andn2_b64 vcc, exec, s[0:1]
	s_cbranch_vccnz .LBB21_1459
; %bb.1449:
	s_waitcnt vmcnt(0)
	v_mov_b32_e32 v1, 6
	v_cmp_lt_i16_sdwa s[0:1], s21, v1 src0_sel:BYTE_0 src1_sel:DWORD
	s_and_b64 vcc, exec, s[0:1]
	s_cbranch_vccnz .LBB21_1452
; %bb.1450:
	v_cmp_gt_i16_sdwa s[0:1], s21, v1 src0_sel:BYTE_0 src1_sel:DWORD
	s_and_b64 vcc, exec, s[0:1]
	s_cbranch_vccz .LBB21_1453
; %bb.1451:
	global_load_dwordx2 v[16:17], v[10:11], off
	s_mov_b64 s[0:1], 0
	s_waitcnt vmcnt(0)
	v_cvt_f32_f64_e32 v1, v[16:17]
	s_branch .LBB21_1454
.LBB21_1452:
	s_mov_b64 s[0:1], -1
                                        ; implicit-def: $vgpr1
	s_branch .LBB21_1457
.LBB21_1453:
	s_mov_b64 s[0:1], -1
                                        ; implicit-def: $vgpr1
.LBB21_1454:
	s_andn2_b64 vcc, exec, s[0:1]
	s_cbranch_vccnz .LBB21_1456
; %bb.1455:
	global_load_dword v1, v[10:11], off
.LBB21_1456:
	s_mov_b64 s[0:1], 0
.LBB21_1457:
	s_andn2_b64 vcc, exec, s[0:1]
	s_cbranch_vccnz .LBB21_1459
; %bb.1458:
	global_load_ushort v1, v[10:11], off
	s_waitcnt vmcnt(0)
	v_cvt_f32_f16_e32 v1, v1
.LBB21_1459:
	s_cbranch_execnz .LBB21_1479
.LBB21_1460:
	s_waitcnt vmcnt(0)
	v_mov_b32_e32 v1, 2
	v_cmp_lt_i16_sdwa s[0:1], s21, v1 src0_sel:BYTE_0 src1_sel:DWORD
	s_and_b64 vcc, exec, s[0:1]
	s_cbranch_vccnz .LBB21_1464
; %bb.1461:
	v_mov_b32_e32 v1, 3
	v_cmp_lt_i16_sdwa s[0:1], s21, v1 src0_sel:BYTE_0 src1_sel:DWORD
	s_and_b64 vcc, exec, s[0:1]
	s_cbranch_vccnz .LBB21_1465
; %bb.1462:
	v_cmp_gt_i16_sdwa s[0:1], s21, v1 src0_sel:BYTE_0 src1_sel:DWORD
	s_and_b64 vcc, exec, s[0:1]
	s_cbranch_vccz .LBB21_1466
; %bb.1463:
	global_load_dwordx2 v[16:17], v[10:11], off
	s_mov_b64 s[0:1], 0
	s_waitcnt vmcnt(0)
	v_xor_b32_e32 v3, v16, v17
	v_ffbh_i32_e32 v1, v17
	v_ashrrev_i32_e32 v3, 31, v3
	v_add_u32_e32 v1, -1, v1
	v_add_u32_e32 v3, 32, v3
	v_min_u32_e32 v1, v1, v3
	v_lshlrev_b64 v[16:17], v1, v[16:17]
	v_min_u32_e32 v3, 1, v16
	v_or_b32_e32 v3, v17, v3
	v_cvt_f32_i32_e32 v3, v3
	v_sub_u32_e32 v1, 32, v1
	v_ldexp_f32 v1, v3, v1
	s_branch .LBB21_1467
.LBB21_1464:
	s_mov_b64 s[0:1], -1
                                        ; implicit-def: $vgpr1
	s_branch .LBB21_1473
.LBB21_1465:
	s_mov_b64 s[0:1], -1
                                        ; implicit-def: $vgpr1
	s_branch .LBB21_1470
.LBB21_1466:
	s_mov_b64 s[0:1], -1
                                        ; implicit-def: $vgpr1
.LBB21_1467:
	s_andn2_b64 vcc, exec, s[0:1]
	s_cbranch_vccnz .LBB21_1469
; %bb.1468:
	global_load_dword v1, v[10:11], off
	s_waitcnt vmcnt(0)
	v_cvt_f32_i32_e32 v1, v1
.LBB21_1469:
	s_mov_b64 s[0:1], 0
.LBB21_1470:
	s_andn2_b64 vcc, exec, s[0:1]
	s_cbranch_vccnz .LBB21_1472
; %bb.1471:
	global_load_sshort v1, v[10:11], off
	s_waitcnt vmcnt(0)
	v_cvt_f32_i32_e32 v1, v1
.LBB21_1472:
	s_mov_b64 s[0:1], 0
.LBB21_1473:
	s_andn2_b64 vcc, exec, s[0:1]
	s_cbranch_vccnz .LBB21_1479
; %bb.1474:
	v_mov_b32_e32 v1, 0
	v_cmp_gt_i16_sdwa s[0:1], s21, v1 src0_sel:BYTE_0 src1_sel:DWORD
	s_and_b64 vcc, exec, s[0:1]
	s_cbranch_vccz .LBB21_1476
; %bb.1475:
	global_load_sbyte v1, v[10:11], off
	s_mov_b64 s[0:1], 0
	s_waitcnt vmcnt(0)
	v_cvt_f32_i32_e32 v1, v1
	s_branch .LBB21_1477
.LBB21_1476:
	s_mov_b64 s[0:1], -1
                                        ; implicit-def: $vgpr1
.LBB21_1477:
	s_andn2_b64 vcc, exec, s[0:1]
	s_cbranch_vccnz .LBB21_1479
; %bb.1478:
	global_load_ubyte v1, v[10:11], off
	s_waitcnt vmcnt(0)
	v_cvt_f32_ubyte0_e32 v1, v1
.LBB21_1479:
.LBB21_1480:
	s_waitcnt vmcnt(0)
	v_cmp_gt_f32_e32 vcc, 0, v1
	v_cndmask_b32_e64 v1, v1, -v1, vcc
	s_mov_b32 s0, 0x40a00000
	v_cmp_ge_f32_e32 vcc, s0, v1
                                        ; implicit-def: $vgpr10
	s_and_saveexec_b64 s[0:1], vcc
	s_xor_b64 s[0:1], exec, s[0:1]
	s_cbranch_execz .LBB21_1486
; %bb.1481:
	s_mov_b32 s2, 0x3727c5ac
	v_cmp_ngt_f32_e32 vcc, s2, v1
	v_mul_f32_e32 v16, v1, v1
                                        ; implicit-def: $vgpr10
	s_and_saveexec_b64 s[2:3], vcc
	s_xor_b64 s[2:3], exec, s[2:3]
	s_cbranch_execz .LBB21_1483
; %bb.1482:
	v_mov_b32_e32 v1, 0x43f9c815
	v_fmac_f32_e32 v1, 0, v16
	v_mov_b32_e32 v3, 0x4829b65a
	v_fmac_f32_e32 v3, v16, v1
	v_mov_b32_e32 v1, 0x4c38c9a1
	v_fmac_f32_e32 v1, v16, v3
	v_mov_b32_e32 v3, 0x5026ad80
	v_fmac_f32_e32 v3, v16, v1
	s_mov_b32 s4, 0xcf8ee29d
	v_mul_f32_e32 v10, 0, v16
	v_mul_f32_e32 v11, v16, v3
	s_mov_b32 s5, 0x53f5f59c
	v_pk_add_f32 v[10:11], v[10:11], s[4:5]
	s_mov_b32 s4, 0x53e3ba8e
	s_mov_b32 s5, 0x578d3514
	v_pk_fma_f32 v[10:11], v[16:17], v[10:11], s[4:5] op_sel_hi:[0,1,1]
	s_mov_b32 s4, 0xd762b0a7
	s_mov_b32 s5, 0x5ae20a0c
	v_pk_fma_f32 v[10:11], v[16:17], v[10:11], s[4:5] op_sel_hi:[0,1,1]
	;; [unrolled: 3-line block ×3, first 2 shown]
	s_mov_b32 s4, 0xc0b90fdc
	s_mov_b32 s5, 0xc1f3c525
	v_pk_add_f32 v[16:17], v[16:17], s[4:5] op_sel_hi:[0,1]
	v_mul_f32_e32 v1, v16, v17
	v_mul_f32_e32 v1, v1, v10
	v_div_scale_f32 v3, s[4:5], v11, v11, v1
	v_rcp_f32_e32 v5, v3
                                        ; implicit-def: $vgpr16
	v_fma_f32 v7, -v3, v5, 1.0
	v_fmac_f32_e32 v5, v7, v5
	v_div_scale_f32 v7, vcc, v1, v11, v1
	v_mul_f32_e32 v9, v7, v5
	v_fma_f32 v10, -v3, v9, v7
	v_fmac_f32_e32 v9, v10, v5
	v_fma_f32 v3, -v3, v9, v7
	v_div_fmas_f32 v3, v3, v5, v9
	v_div_fixup_f32 v10, v3, v11, v1
.LBB21_1483:
	s_andn2_saveexec_b64 s[2:3], s[2:3]
; %bb.1484:
	s_mov_b32 s4, 0xbe800000
	v_fma_f32 v10, v16, s4, 1.0
; %bb.1485:
	s_or_b64 exec, exec, s[2:3]
                                        ; implicit-def: $vgpr1
.LBB21_1486:
	s_andn2_saveexec_b64 s[14:15], s[0:1]
	s_cbranch_execz .LBB21_1496
; %bb.1487:
	v_add_f32_e32 v3, 0xbf490fdb, v1
	s_brev_b32 s0, 18
	v_and_b32_e32 v5, 0x7fffffff, v3
	v_cmp_nlt_f32_e64 s[16:17], |v3|, s0
                                        ; implicit-def: $vgpr7
                                        ; implicit-def: $vgpr9
	s_and_saveexec_b64 s[0:1], s[16:17]
	s_xor_b64 s[18:19], exec, s[0:1]
	s_cbranch_execz .LBB21_1489
; %bb.1488:
	v_lshrrev_b32_e32 v7, 23, v5
	v_add_u32_e32 v7, 0xffffff88, v7
	v_not_b32_e32 v9, 63
	v_cmp_lt_u32_e32 vcc, 63, v7
	v_cndmask_b32_e32 v9, 0, v9, vcc
	v_add_u32_e32 v7, v9, v7
	v_not_b32_e32 v9, 31
	v_cmp_lt_u32_e64 s[0:1], 31, v7
	v_cndmask_b32_e64 v10, 0, v9, s[0:1]
	v_add_u32_e32 v7, v10, v7
	v_cmp_lt_u32_e64 s[2:3], 31, v7
	v_cndmask_b32_e64 v9, 0, v9, s[2:3]
	v_add_u32_e32 v7, v9, v7
	v_and_b32_e32 v9, 0x7fffff, v5
	v_or_b32_e32 v9, 0x800000, v9
	s_mov_b32 s4, 0xfe5163ab
	v_mad_u64_u32 v[16:17], s[4:5], v9, s4, 0
	v_mov_b32_e32 v11, 0
	v_mov_b32_e32 v10, v17
	s_mov_b32 s4, 0x3c439041
	v_mad_u64_u32 v[18:19], s[4:5], v9, s4, v[10:11]
	v_mov_b32_e32 v10, v19
	s_mov_b32 s4, 0xdb629599
	v_mad_u64_u32 v[20:21], s[4:5], v9, s4, v[10:11]
	v_mov_b32_e32 v10, v21
	s_mov_b32 s4, 0xf534ddc0
	v_mad_u64_u32 v[22:23], s[4:5], v9, s4, v[10:11]
	v_mov_b32_e32 v10, v23
	s_mov_b32 s4, 0xfc2757d1
	v_mad_u64_u32 v[24:25], s[4:5], v9, s4, v[10:11]
	v_mov_b32_e32 v10, v25
	s_mov_b32 s4, 0x4e441529
	v_mad_u64_u32 v[26:27], s[4:5], v9, s4, v[10:11]
	v_mov_b32_e32 v10, v27
	s_mov_b32 s4, 0xa2f9836e
	v_mad_u64_u32 v[10:11], s[4:5], v9, s4, v[10:11]
	v_cndmask_b32_e32 v13, v26, v22, vcc
	v_cndmask_b32_e32 v9, v10, v24, vcc
	;; [unrolled: 1-line block ×3, first 2 shown]
	v_cndmask_b32_e64 v10, v9, v13, s[0:1]
	v_cndmask_b32_e64 v9, v11, v9, s[0:1]
	v_cndmask_b32_e32 v11, v24, v20, vcc
	v_cndmask_b32_e64 v13, v13, v11, s[0:1]
	v_cndmask_b32_e64 v9, v9, v10, s[2:3]
	;; [unrolled: 1-line block ×3, first 2 shown]
	v_sub_u32_e32 v15, 32, v7
	v_alignbit_b32 v17, v9, v10, v15
	v_cmp_eq_u32_e64 s[4:5], 0, v7
	v_cndmask_b32_e64 v7, v17, v9, s[4:5]
	v_cndmask_b32_e32 v9, v22, v18, vcc
	v_cndmask_b32_e64 v11, v11, v9, s[0:1]
	v_cndmask_b32_e64 v13, v13, v11, s[2:3]
	v_alignbit_b32 v17, v10, v13, v15
	v_cndmask_b32_e32 v16, v20, v16, vcc
	v_cndmask_b32_e64 v10, v17, v10, s[4:5]
	v_bfe_u32 v19, v7, 29, 1
	v_cndmask_b32_e64 v9, v9, v16, s[0:1]
	v_alignbit_b32 v17, v7, v10, 30
	v_sub_u32_e32 v21, 0, v19
	v_cndmask_b32_e64 v9, v11, v9, s[2:3]
	v_xor_b32_e32 v22, v17, v21
	v_alignbit_b32 v11, v13, v9, v15
	v_cndmask_b32_e64 v11, v11, v13, s[4:5]
	v_ffbh_u32_e32 v13, v22
	v_add_u32_e32 v13, 1, v13
	v_cmp_ne_u32_e32 vcc, v17, v21
	v_alignbit_b32 v10, v10, v11, 30
	v_cndmask_b32_e32 v13, 33, v13, vcc
	v_alignbit_b32 v9, v11, v9, 30
	v_xor_b32_e32 v10, v10, v21
	v_sub_u32_e32 v15, 32, v13
	v_xor_b32_e32 v9, v9, v21
	v_alignbit_b32 v16, v22, v10, v15
	v_alignbit_b32 v9, v10, v9, v15
	;; [unrolled: 1-line block ×3, first 2 shown]
	v_ffbh_u32_e32 v11, v10
	v_min_u32_e32 v11, 32, v11
	v_lshrrev_b32_e32 v18, 29, v7
	v_sub_u32_e32 v15, 31, v11
	v_alignbit_b32 v9, v10, v9, v15
	v_lshlrev_b32_e32 v10, 31, v18
	v_or_b32_e32 v15, 0x33800000, v10
	v_add_lshl_u32 v11, v11, v13, 23
	v_lshrrev_b32_e32 v9, 9, v9
	v_sub_u32_e32 v11, v15, v11
	v_or_b32_e32 v9, v11, v9
	v_alignbit_b32 v11, v13, v16, 9
	v_or_b32_e32 v10, v11, v10
	v_xor_b32_e32 v10, 1.0, v10
	s_mov_b32 s0, 0x3fc90fda
	v_mul_f32_e32 v11, 0x3fc90fda, v10
	v_fma_f32 v13, v10, s0, -v11
	v_fmac_f32_e32 v13, 0x33a22168, v10
	v_fmac_f32_e32 v13, 0x3fc90fda, v9
	v_lshrrev_b32_e32 v7, 30, v7
	v_add_f32_e32 v9, v11, v13
	v_add_u32_e32 v7, v19, v7
	s_andn2_saveexec_b64 s[0:1], s[18:19]
	s_branch .LBB21_1490
.LBB21_1489:
	s_andn2_saveexec_b64 s[0:1], s[18:19]
.LBB21_1490:
	s_mov_b32 s2, 0x3f22f983
	v_mul_f32_e64 v7, |v3|, s2
	v_rndne_f32_e32 v10, v7
	s_mov_b32 s2, 0xbfc90fda
	v_cvt_i32_f32_e32 v7, v10
	v_fma_f32 v9, v10, s2, |v3|
	v_fmac_f32_e32 v9, 0xb3a22168, v10
	v_fmac_f32_e32 v9, 0xa7c234c4, v10
; %bb.1491:
	s_or_b64 exec, exec, s[0:1]
                                        ; implicit-def: $vgpr10
                                        ; implicit-def: $vgpr11
	s_and_saveexec_b64 s[0:1], s[16:17]
	s_xor_b64 s[16:17], exec, s[0:1]
	s_cbranch_execz .LBB21_1493
; %bb.1492:
	v_lshrrev_b32_e32 v10, 23, v5
	v_add_u32_e32 v10, 0xffffff88, v10
	v_not_b32_e32 v13, 63
	v_cmp_lt_u32_e32 vcc, 63, v10
	v_cndmask_b32_e32 v13, 0, v13, vcc
	v_add_u32_e32 v10, v13, v10
	v_not_b32_e32 v13, 31
	v_cmp_lt_u32_e64 s[0:1], 31, v10
	v_cndmask_b32_e64 v15, 0, v13, s[0:1]
	v_add_u32_e32 v10, v15, v10
	v_cmp_lt_u32_e64 s[2:3], 31, v10
	v_cndmask_b32_e64 v13, 0, v13, s[2:3]
	v_add_u32_e32 v13, v13, v10
	v_and_b32_e32 v10, 0x7fffff, v5
	v_or_b32_e32 v15, 0x800000, v10
	s_mov_b32 s4, 0xfe5163ab
	v_mad_u64_u32 v[16:17], s[4:5], v15, s4, 0
	v_mov_b32_e32 v11, 0
	v_mov_b32_e32 v10, v17
	s_mov_b32 s4, 0x3c439041
	v_mad_u64_u32 v[18:19], s[4:5], v15, s4, v[10:11]
	v_mov_b32_e32 v10, v19
	s_mov_b32 s4, 0xdb629599
	v_mad_u64_u32 v[20:21], s[4:5], v15, s4, v[10:11]
	;; [unrolled: 3-line block ×6, first 2 shown]
	v_cndmask_b32_e32 v17, v26, v22, vcc
	v_cndmask_b32_e32 v10, v10, v24, vcc
	v_cndmask_b32_e32 v11, v11, v26, vcc
	v_cndmask_b32_e64 v15, v10, v17, s[0:1]
	v_cndmask_b32_e64 v10, v11, v10, s[0:1]
	v_cndmask_b32_e32 v11, v24, v20, vcc
	v_cndmask_b32_e64 v17, v17, v11, s[0:1]
	v_sub_u32_e32 v19, 32, v13
	v_cmp_eq_u32_e64 s[4:5], 0, v13
	v_cndmask_b32_e32 v13, v22, v18, vcc
	v_cndmask_b32_e64 v10, v10, v15, s[2:3]
	v_cndmask_b32_e64 v15, v15, v17, s[2:3]
	;; [unrolled: 1-line block ×3, first 2 shown]
	v_alignbit_b32 v21, v10, v15, v19
	v_cndmask_b32_e64 v17, v17, v11, s[2:3]
	v_cndmask_b32_e64 v10, v21, v10, s[4:5]
	v_alignbit_b32 v18, v15, v17, v19
	v_cndmask_b32_e64 v15, v18, v15, s[4:5]
	v_bfe_u32 v22, v10, 29, 1
	v_cndmask_b32_e32 v16, v20, v16, vcc
	v_alignbit_b32 v18, v10, v15, 30
	v_sub_u32_e32 v23, 0, v22
	v_cndmask_b32_e64 v13, v13, v16, s[0:1]
	v_xor_b32_e32 v24, v18, v23
	v_cndmask_b32_e64 v11, v11, v13, s[2:3]
	v_alignbit_b32 v13, v17, v11, v19
	v_ffbh_u32_e32 v16, v24
	v_cndmask_b32_e64 v13, v13, v17, s[4:5]
	v_add_u32_e32 v16, 1, v16
	v_cmp_ne_u32_e32 vcc, v18, v23
	v_alignbit_b32 v15, v15, v13, 30
	v_cndmask_b32_e32 v16, 33, v16, vcc
	v_alignbit_b32 v11, v13, v11, 30
	v_xor_b32_e32 v15, v15, v23
	v_sub_u32_e32 v17, 32, v16
	v_xor_b32_e32 v11, v11, v23
	v_alignbit_b32 v18, v24, v15, v17
	v_alignbit_b32 v11, v15, v11, v17
	;; [unrolled: 1-line block ×3, first 2 shown]
	v_ffbh_u32_e32 v15, v13
	v_min_u32_e32 v15, 32, v15
	v_lshrrev_b32_e32 v21, 29, v10
	v_sub_u32_e32 v17, 31, v15
	v_alignbit_b32 v11, v13, v11, v17
	v_lshlrev_b32_e32 v13, 31, v21
	v_or_b32_e32 v17, 0x33800000, v13
	v_add_lshl_u32 v15, v15, v16, 23
	v_lshrrev_b32_e32 v11, 9, v11
	v_sub_u32_e32 v15, v17, v15
	v_or_b32_e32 v11, v15, v11
	v_alignbit_b32 v15, v16, v18, 9
	v_or_b32_e32 v13, v15, v13
	v_xor_b32_e32 v13, 1.0, v13
	s_mov_b32 s0, 0x3fc90fda
	v_mul_f32_e32 v15, 0x3fc90fda, v13
	v_fma_f32 v16, v13, s0, -v15
	v_fmac_f32_e32 v16, 0x33a22168, v13
	v_fmac_f32_e32 v16, 0x3fc90fda, v11
	v_lshrrev_b32_e32 v10, 30, v10
	v_add_f32_e32 v11, v15, v16
	v_add_u32_e32 v10, v22, v10
	s_andn2_saveexec_b64 s[0:1], s[16:17]
	s_cbranch_execnz .LBB21_1494
	s_branch .LBB21_1495
.LBB21_1493:
	s_andn2_saveexec_b64 s[0:1], s[16:17]
.LBB21_1494:
	s_mov_b32 s2, 0x3f22f983
	v_mul_f32_e64 v10, |v3|, s2
	v_rndne_f32_e32 v13, v10
	s_mov_b32 s2, 0xbfc90fda
	v_cvt_i32_f32_e32 v10, v13
	v_fma_f32 v11, v13, s2, |v3|
	v_fmac_f32_e32 v11, 0xb3a22168, v13
	v_fmac_f32_e32 v11, 0xa7c234c4, v13
.LBB21_1495:
	s_or_b64 exec, exec, s[0:1]
	v_mul_f32_e32 v13, v1, v1
	s_mov_b32 s2, 0x41c80000
	v_div_scale_f32 v15, s[0:1], v13, v13, s2
	v_rcp_f32_e32 v16, v15
	v_mov_b32_e32 v23, 0xbf000004
	s_mov_b32 s4, 0xc0a00000
	v_fma_f32 v17, -v15, v16, 1.0
	v_fmac_f32_e32 v16, v17, v16
	v_div_scale_f32 v17, vcc, s2, v13, s2
	v_mul_f32_e32 v18, v17, v16
	v_fma_f32 v19, -v15, v18, v17
	v_fmac_f32_e32 v18, v19, v16
	v_fma_f32 v15, -v15, v18, v17
	v_div_fmas_f32 v15, v15, v16, v18
	v_div_fixup_f32 v13, v15, v13, s2
	v_mov_b32_e32 v15, 0x3a50e985
	v_fmac_f32_e32 v15, 0, v13
	v_mov_b32_e32 v16, 0x3da9a586
	v_fmac_f32_e32 v16, v13, v15
	;; [unrolled: 2-line block ×12, first 2 shown]
	v_fma_f32 v15, v13, v17, 1.0
	v_mov_b32_e32 v17, 0xbc3a3a12
	v_fmac_f32_e32 v17, 0, v13
	v_mov_b32_e32 v18, 0xbfa429da
	v_fmac_f32_e32 v18, v13, v17
	;; [unrolled: 2-line block ×9, first 2 shown]
	v_mov_b32_e32 v19, 0x44561b86
	v_fma_f32 v16, v13, v16, 1.0
	v_fmac_f32_e32 v19, v13, v17
	v_mov_b32_e32 v17, 0x4572a66e
	v_div_scale_f32 v20, s[0:1], v15, v15, v16
	v_fmac_f32_e32 v17, v13, v19
	v_mov_b32_e32 v19, 0x45e243be
	v_rcp_f32_e32 v21, v20
	v_fmac_f32_e32 v19, v13, v17
	v_mov_b32_e32 v17, 0x45b955d1
	v_fmac_f32_e32 v17, v13, v19
	v_mov_b32_e32 v19, 0x4500e17e
	;; [unrolled: 2-line block ×3, first 2 shown]
	v_fmac_f32_e32 v17, v13, v19
	v_fma_f32 v13, -v20, v21, 1.0
	v_fmac_f32_e32 v21, v13, v21
	v_div_scale_f32 v13, vcc, v16, v15, v16
	v_mul_f32_e32 v19, v13, v21
	v_fma_f32 v22, -v20, v19, v13
	v_fmac_f32_e32 v19, v22, v21
	v_fma_f32 v13, -v20, v19, v13
	v_div_fmas_f32 v13, v13, v21, v19
	v_div_fixup_f32 v13, v13, v15, v16
	v_mul_f32_e32 v15, v9, v9
	v_mov_b32_e32 v21, 0xbab64f3b
	v_mov_b32_e32 v19, 0x3c0881c4
	v_fmac_f32_e32 v21, 0x37d75334, v15
	v_mov_b32_e32 v22, 0x3d2aabf7
	v_fmac_f32_e32 v19, 0xb94c1982, v15
	v_mov_b32_e32 v20, 0xbe2aaa9d
	v_fma_f32 v21, v15, v21, v22
	v_fma_f32 v19, v15, v19, v20
	;; [unrolled: 1-line block ×3, first 2 shown]
	v_mul_f32_e32 v19, v15, v19
	v_fma_f32 v15, v15, v21, 1.0
	v_and_b32_e32 v21, 1, v7
	v_fmac_f32_e32 v9, v9, v19
	v_cmp_eq_u32_e32 vcc, 0, v21
	v_lshlrev_b32_e32 v7, 30, v7
	v_cndmask_b32_e64 v9, -v9, v15, vcc
	v_and_b32_e32 v7, 0x80000000, v7
	v_xor_b32_e32 v7, v7, v9
	v_div_scale_f32 v9, s[0:1], v1, v1, s4
	v_rcp_f32_e32 v15, v9
	s_movk_i32 s2, 0x1f8
	v_cmp_class_f32_e64 s[0:1], v3, s2
	v_mov_b32_e32 v16, 0x3c0881c4
	v_fma_f32 v24, -v9, v15, 1.0
	v_fmac_f32_e32 v15, v24, v15
	v_div_scale_f32 v24, vcc, s4, v1, s4
	v_mul_f32_e32 v25, v24, v15
	v_fma_f32 v26, -v9, v25, v24
	v_fmac_f32_e32 v25, v26, v15
	v_fma_f32 v9, -v9, v25, v24
	v_div_scale_f32 v24, s[2:3], v17, v17, v18
	v_rcp_f32_e32 v26, v24
	v_div_fmas_f32 v9, v9, v15, v25
	v_div_fixup_f32 v9, v9, v1, s4
	v_mov_b32_e32 v19, 0xbab64f3b
	v_fma_f32 v15, -v24, v26, 1.0
	v_fmac_f32_e32 v26, v15, v26
	v_div_scale_f32 v15, vcc, v18, v17, v18
	v_mul_f32_e32 v25, v15, v26
	v_fma_f32 v27, -v24, v25, v15
	v_fmac_f32_e32 v25, v27, v26
	v_fma_f32 v15, -v24, v25, v15
	v_div_fmas_f32 v15, v15, v26, v25
	v_div_fixup_f32 v15, v15, v17, v18
	v_mul_f32_e32 v9, v9, v15
	v_mul_f32_e32 v15, v11, v11
	v_fmac_f32_e32 v16, 0xb94c1982, v15
	v_fmac_f32_e32 v20, v15, v16
	;; [unrolled: 1-line block ×3, first 2 shown]
	v_mul_f32_e32 v16, v15, v20
	v_fmac_f32_e32 v22, v15, v19
	v_fmac_f32_e32 v11, v11, v16
	;; [unrolled: 1-line block ×3, first 2 shown]
	v_and_b32_e32 v16, 1, v10
	v_lshlrev_b32_e32 v10, 30, v10
	v_fma_f32 v15, v15, v23, 1.0
	v_cmp_eq_u32_e32 vcc, 0, v16
	v_and_b32_e32 v10, 0x80000000, v10
	v_xor_b32_e32 v3, v5, v3
	v_cndmask_b32_e32 v11, v15, v11, vcc
	v_xor_b32_e32 v3, v3, v10
	v_mov_b32_e32 v21, 0x7fc00000
	v_xor_b32_e32 v3, v3, v11
	v_cndmask_b32_e64 v7, v21, v7, s[0:1]
	v_cndmask_b32_e64 v3, v21, v3, s[0:1]
	s_mov_b32 s0, 0xf800000
	v_mul_f32_e32 v5, 0x4f800000, v1
	v_cmp_gt_f32_e32 vcc, s0, v1
	v_cndmask_b32_e32 v1, v1, v5, vcc
	v_sqrt_f32_e32 v5, v1
	v_mul_f32_e32 v3, v9, v3
	v_fmac_f32_e32 v3, v13, v7
	v_mul_f32_e32 v3, 0x3f4c422a, v3
	v_add_u32_e32 v7, -1, v5
	v_fma_f32 v9, -v7, v5, v1
	v_cmp_ge_f32_e64 s[0:1], 0, v9
	v_add_u32_e32 v9, 1, v5
	v_cndmask_b32_e64 v7, v5, v7, s[0:1]
	v_fma_f32 v5, -v9, v5, v1
	v_cmp_lt_f32_e64 s[0:1], 0, v5
	v_cndmask_b32_e64 v5, v7, v9, s[0:1]
	v_mul_f32_e32 v7, 0x37800000, v5
	v_cndmask_b32_e32 v5, v5, v7, vcc
	v_mov_b32_e32 v7, 0x260
	v_cmp_class_f32_e32 vcc, v1, v7
	v_cndmask_b32_e32 v1, v5, v1, vcc
	v_div_scale_f32 v5, s[0:1], v1, v1, v3
	v_rcp_f32_e32 v7, v5
	v_fma_f32 v9, -v5, v7, 1.0
	v_fmac_f32_e32 v7, v9, v7
	v_div_scale_f32 v9, vcc, v3, v1, v3
	v_mul_f32_e32 v10, v9, v7
	v_fma_f32 v11, -v5, v10, v9
	v_fmac_f32_e32 v10, v11, v7
	v_fma_f32 v5, -v5, v10, v9
	v_div_fmas_f32 v5, v5, v7, v10
	v_div_fixup_f32 v10, v5, v1, v3
.LBB21_1496:
	s_or_b64 exec, exec, s[14:15]
	v_mov_b32_e32 v1, s11
	v_add_co_u32_e32 v14, vcc, s10, v14
	v_addc_co_u32_e32 v15, vcc, 0, v1, vcc
	v_mov_b32_e32 v1, 11
	v_cmp_lt_i16_sdwa s[0:1], s21, v1 src0_sel:BYTE_0 src1_sel:DWORD
	s_and_b64 vcc, exec, s[0:1]
	s_cbranch_vccnz .LBB21_1503
; %bb.1497:
	v_mov_b32_e32 v1, 25
	v_cmp_gt_i16_sdwa s[0:1], s21, v1 src0_sel:BYTE_0 src1_sel:DWORD
	s_mov_b64 s[2:3], 0
	s_and_b64 vcc, exec, s[0:1]
	s_cbranch_vccz .LBB21_1505
; %bb.1498:
	v_mov_b32_e32 v1, 28
	v_cmp_gt_i16_sdwa s[0:1], s21, v1 src0_sel:BYTE_0 src1_sel:DWORD
	s_and_b64 vcc, exec, s[0:1]
	s_cbranch_vccz .LBB21_1506
; %bb.1499:
	v_mov_b32_e32 v1, 43
	v_cmp_gt_i16_sdwa s[0:1], s21, v1 src0_sel:BYTE_0 src1_sel:DWORD
	;; [unrolled: 5-line block ×3, first 2 shown]
	s_and_b64 vcc, exec, s[0:1]
	s_cbranch_vccz .LBB21_1509
; %bb.1501:
	v_mov_b32_e32 v1, 46
	v_cmp_eq_u16_sdwa s[0:1], s21, v1 src0_sel:BYTE_0 src1_sel:DWORD
	s_mov_b64 s[14:15], 0
	s_and_b64 vcc, exec, s[0:1]
	s_cbranch_vccz .LBB21_1510
; %bb.1502:
	global_load_dword v1, v[14:15], off
	s_mov_b64 s[0:1], 0
	s_mov_b64 s[4:5], -1
	s_waitcnt vmcnt(0)
	v_lshlrev_b32_e32 v1, 16, v1
	s_branch .LBB21_1511
.LBB21_1503:
	s_mov_b64 s[4:5], 0
                                        ; implicit-def: $vgpr1
	s_cbranch_execnz .LBB21_1577
.LBB21_1504:
	s_andn2_b64 vcc, exec, s[4:5]
	s_cbranch_vccnz .LBB21_1780
	s_branch .LBB21_1625
.LBB21_1505:
	s_mov_b64 s[14:15], -1
	s_mov_b64 s[4:5], 0
	s_mov_b64 s[0:1], 0
                                        ; implicit-def: $vgpr1
	s_branch .LBB21_1540
.LBB21_1506:
	s_mov_b64 s[14:15], -1
	s_mov_b64 s[4:5], 0
	s_mov_b64 s[0:1], 0
                                        ; implicit-def: $vgpr1
	s_branch .LBB21_1521
.LBB21_1507:
	s_mov_b64 s[14:15], -1
	s_mov_b64 s[4:5], 0
	s_mov_b64 s[0:1], 0
                                        ; implicit-def: $vgpr1
	s_branch .LBB21_1516
.LBB21_1508:
	s_trap 2
	s_or_b64 s[12:13], s[12:13], exec
                                        ; implicit-def: $vgpr1
	s_cbranch_execz .LBB21_1431
	s_branch .LBB21_1432
.LBB21_1509:
	s_mov_b64 s[14:15], -1
	s_mov_b64 s[4:5], 0
	s_mov_b64 s[0:1], 0
                                        ; implicit-def: $vgpr1
	s_branch .LBB21_1511
.LBB21_1510:
	s_mov_b64 s[0:1], -1
                                        ; implicit-def: $vgpr1
	s_mov_b64 s[4:5], 0
.LBB21_1511:
	s_and_b64 vcc, exec, s[14:15]
	s_cbranch_vccz .LBB21_1515
; %bb.1512:
	v_mov_b32_e32 v1, 44
	v_cmp_eq_u16_sdwa s[0:1], s21, v1 src0_sel:BYTE_0 src1_sel:DWORD
	s_and_b64 vcc, exec, s[0:1]
	s_cbranch_vccz .LBB21_1514
; %bb.1513:
	global_load_ubyte v1, v[14:15], off
	s_movk_i32 s4, 0xff
	v_mov_b32_e32 v3, 0x7f800001
	v_mov_b32_e32 v5, 0x400000
	s_mov_b64 s[0:1], 0
	s_waitcnt vmcnt(0)
	v_lshlrev_b32_e32 v7, 23, v1
	v_cmp_ne_u32_e32 vcc, s4, v1
	v_cndmask_b32_e32 v3, v3, v7, vcc
	v_cmp_ne_u32_e32 vcc, 0, v1
	v_cndmask_b32_e32 v1, v5, v3, vcc
	s_mov_b64 s[4:5], -1
	s_branch .LBB21_1515
.LBB21_1514:
	s_mov_b64 s[0:1], -1
                                        ; implicit-def: $vgpr1
.LBB21_1515:
	s_mov_b64 s[14:15], 0
.LBB21_1516:
	s_and_b64 vcc, exec, s[14:15]
	s_cbranch_vccz .LBB21_1520
; %bb.1517:
	v_mov_b32_e32 v1, 29
	v_cmp_eq_u16_sdwa s[0:1], s21, v1 src0_sel:BYTE_0 src1_sel:DWORD
	s_and_b64 vcc, exec, s[0:1]
	s_cbranch_vccz .LBB21_1519
; %bb.1518:
	global_load_dwordx2 v[16:17], v[14:15], off
	s_mov_b64 s[0:1], 0
	s_mov_b64 s[4:5], -1
	s_mov_b64 s[14:15], 0
	s_waitcnt vmcnt(0)
	v_ffbh_u32_e32 v1, v17
	v_min_u32_e32 v1, 32, v1
	v_lshlrev_b64 v[16:17], v1, v[16:17]
	v_min_u32_e32 v3, 1, v16
	v_or_b32_e32 v3, v17, v3
	v_cvt_f32_u32_e32 v3, v3
	v_sub_u32_e32 v1, 32, v1
	v_ldexp_f32 v1, v3, v1
	s_branch .LBB21_1521
.LBB21_1519:
	s_mov_b64 s[0:1], -1
                                        ; implicit-def: $vgpr1
.LBB21_1520:
	s_mov_b64 s[14:15], 0
.LBB21_1521:
	s_and_b64 vcc, exec, s[14:15]
	s_cbranch_vccz .LBB21_1539
; %bb.1522:
	v_mov_b32_e32 v1, 27
	v_cmp_lt_i16_sdwa s[4:5], s21, v1 src0_sel:BYTE_0 src1_sel:DWORD
	s_and_b64 vcc, exec, s[4:5]
	s_cbranch_vccnz .LBB21_1525
; %bb.1523:
	v_cmp_gt_i16_sdwa s[4:5], s21, v1 src0_sel:BYTE_0 src1_sel:DWORD
	s_and_b64 vcc, exec, s[4:5]
	s_cbranch_vccz .LBB21_1526
; %bb.1524:
	global_load_dword v1, v[14:15], off
	s_mov_b64 s[4:5], 0
	s_waitcnt vmcnt(0)
	v_cvt_f32_u32_e32 v1, v1
	s_branch .LBB21_1527
.LBB21_1525:
	s_mov_b64 s[4:5], -1
                                        ; implicit-def: $vgpr1
	s_branch .LBB21_1530
.LBB21_1526:
	s_mov_b64 s[4:5], -1
                                        ; implicit-def: $vgpr1
.LBB21_1527:
	s_andn2_b64 vcc, exec, s[4:5]
	s_cbranch_vccnz .LBB21_1529
; %bb.1528:
	global_load_ushort v1, v[14:15], off
	s_waitcnt vmcnt(0)
	v_cvt_f32_u32_e32 v1, v1
.LBB21_1529:
	s_mov_b64 s[4:5], 0
.LBB21_1530:
	s_andn2_b64 vcc, exec, s[4:5]
	s_cbranch_vccnz .LBB21_1538
; %bb.1531:
	global_load_ubyte v3, v[14:15], off
	s_movk_i32 s4, 0x7f
                                        ; implicit-def: $sgpr18
	s_waitcnt vmcnt(0)
	v_cmp_lt_i16_e32 vcc, s4, v3
	s_mov_b64 s[4:5], 0
	s_and_saveexec_b64 s[14:15], vcc
	s_xor_b64 s[14:15], exec, s[14:15]
	s_cbranch_execz .LBB21_1552
; %bb.1532:
	s_movk_i32 s4, 0x80
	v_cmp_eq_u16_e32 vcc, s4, v3
	s_mov_b64 s[4:5], -1
                                        ; implicit-def: $sgpr18
	s_and_saveexec_b64 s[16:17], vcc
; %bb.1533:
	s_mov_b32 s18, 0x7f800001
	s_xor_b64 s[4:5], exec, -1
; %bb.1534:
	s_or_b64 exec, exec, s[16:17]
	s_and_b64 s[4:5], s[4:5], exec
	s_or_saveexec_b64 s[14:15], s[14:15]
	v_mov_b32_e32 v1, s18
	s_xor_b64 exec, exec, s[14:15]
	s_cbranch_execnz .LBB21_1553
.LBB21_1535:
	s_or_b64 exec, exec, s[14:15]
	s_and_saveexec_b64 s[14:15], s[4:5]
	s_cbranch_execz .LBB21_1537
.LBB21_1536:
	v_lshlrev_b32_e32 v1, 24, v3
	v_and_b32_e32 v3, 0xffff, v3
	v_and_b32_e32 v5, 7, v3
	v_ffbh_u32_e32 v9, v5
	v_min_u32_e32 v9, 32, v9
	v_subrev_u32_e32 v11, 28, v9
	v_bfe_u32 v7, v3, 3, 4
	v_lshlrev_b32_e32 v3, v11, v3
	v_sub_u32_e32 v9, 29, v9
	v_and_b32_e32 v3, 7, v3
	v_cmp_eq_u32_e32 vcc, 0, v7
	v_cndmask_b32_e32 v7, v7, v9, vcc
	v_cndmask_b32_e32 v3, v5, v3, vcc
	v_mov_b32_e32 v5, 0x3b800000
	v_lshlrev_b32_e32 v3, 20, v3
	v_and_b32_e32 v1, 0x80000000, v1
	v_lshl_add_u32 v5, v7, 23, v5
	v_or3_b32 v1, v1, v5, v3
.LBB21_1537:
	s_or_b64 exec, exec, s[14:15]
.LBB21_1538:
	s_mov_b64 s[4:5], -1
.LBB21_1539:
	s_mov_b64 s[14:15], 0
.LBB21_1540:
	s_and_b64 vcc, exec, s[14:15]
	s_cbranch_vccz .LBB21_1573
; %bb.1541:
	v_mov_b32_e32 v1, 22
	v_cmp_gt_i16_sdwa s[2:3], s21, v1 src0_sel:BYTE_0 src1_sel:DWORD
	s_and_b64 vcc, exec, s[2:3]
	s_cbranch_vccz .LBB21_1551
; %bb.1542:
	v_mov_b32_e32 v1, 24
	v_cmp_lt_i16_sdwa s[2:3], s21, v1 src0_sel:BYTE_0 src1_sel:DWORD
	s_and_b64 vcc, exec, s[2:3]
	s_cbranch_vccnz .LBB21_1554
; %bb.1543:
	v_cmp_gt_i16_sdwa s[2:3], s21, v1 src0_sel:BYTE_0 src1_sel:DWORD
	s_and_b64 vcc, exec, s[2:3]
	s_cbranch_vccz .LBB21_1555
; %bb.1544:
	global_load_ubyte v3, v[14:15], off
	s_movk_i32 s2, 0x7f
                                        ; implicit-def: $sgpr16
	s_waitcnt vmcnt(0)
	v_cmp_lt_i16_e32 vcc, s2, v3
	s_mov_b64 s[2:3], 0
	s_and_saveexec_b64 s[4:5], vcc
	s_xor_b64 s[4:5], exec, s[4:5]
	s_cbranch_execz .LBB21_1567
; %bb.1545:
	s_movk_i32 s2, 0x80
	v_cmp_eq_u16_e32 vcc, s2, v3
	s_mov_b64 s[2:3], -1
                                        ; implicit-def: $sgpr16
	s_and_saveexec_b64 s[14:15], vcc
; %bb.1546:
	s_mov_b32 s16, 0x7f800001
	s_xor_b64 s[2:3], exec, -1
; %bb.1547:
	s_or_b64 exec, exec, s[14:15]
	s_and_b64 s[2:3], s[2:3], exec
	s_or_saveexec_b64 s[4:5], s[4:5]
	v_mov_b32_e32 v1, s16
	s_xor_b64 exec, exec, s[4:5]
	s_cbranch_execnz .LBB21_1568
.LBB21_1548:
	s_or_b64 exec, exec, s[4:5]
	s_and_saveexec_b64 s[4:5], s[2:3]
	s_cbranch_execz .LBB21_1550
.LBB21_1549:
	v_lshlrev_b32_e32 v1, 24, v3
	v_and_b32_e32 v3, 0xffff, v3
	v_and_b32_e32 v5, 3, v3
	v_ffbh_u32_e32 v9, v5
	v_min_u32_e32 v9, 32, v9
	v_subrev_u32_e32 v11, 29, v9
	v_bfe_u32 v7, v3, 2, 5
	v_lshlrev_b32_e32 v3, v11, v3
	v_sub_u32_e32 v9, 30, v9
	v_and_b32_e32 v3, 3, v3
	v_cmp_eq_u32_e32 vcc, 0, v7
	v_cndmask_b32_e32 v7, v7, v9, vcc
	v_cndmask_b32_e32 v3, v5, v3, vcc
	v_mov_b32_e32 v5, 0x37800000
	v_lshlrev_b32_e32 v3, 21, v3
	v_and_b32_e32 v1, 0x80000000, v1
	v_lshl_add_u32 v5, v7, 23, v5
	v_or3_b32 v1, v1, v5, v3
.LBB21_1550:
	s_or_b64 exec, exec, s[4:5]
	s_mov_b64 s[2:3], 0
	s_branch .LBB21_1556
.LBB21_1551:
	s_mov_b64 s[2:3], -1
                                        ; implicit-def: $vgpr1
	s_branch .LBB21_1562
.LBB21_1552:
	s_or_saveexec_b64 s[14:15], s[14:15]
	v_mov_b32_e32 v1, s18
	s_xor_b64 exec, exec, s[14:15]
	s_cbranch_execz .LBB21_1535
.LBB21_1553:
	v_cmp_ne_u16_e32 vcc, 0, v3
	s_andn2_b64 s[4:5], s[4:5], exec
	s_and_b64 s[16:17], vcc, exec
	v_mov_b32_e32 v1, 0
	s_or_b64 s[4:5], s[4:5], s[16:17]
	s_or_b64 exec, exec, s[14:15]
	s_and_saveexec_b64 s[14:15], s[4:5]
	s_cbranch_execnz .LBB21_1536
	s_branch .LBB21_1537
.LBB21_1554:
	s_mov_b64 s[2:3], -1
                                        ; implicit-def: $vgpr1
	s_branch .LBB21_1559
.LBB21_1555:
	s_mov_b64 s[2:3], -1
                                        ; implicit-def: $vgpr1
.LBB21_1556:
	s_and_b64 vcc, exec, s[2:3]
	s_cbranch_vccz .LBB21_1558
; %bb.1557:
	global_load_ubyte v1, v[14:15], off
	s_mov_b32 s2, 0x7f800000
	s_waitcnt vmcnt(0)
	v_lshlrev_b32_e32 v1, 24, v1
	v_and_b32_e32 v3, 0x7f000000, v1
	v_ffbh_u32_e32 v5, v3
	v_min_u32_e32 v5, 32, v5
	v_sub_u32_e64 v5, v5, 4 clamp
	v_lshlrev_b32_e32 v9, v5, v3
	v_lshlrev_b32_e32 v5, 23, v5
	v_lshrrev_b32_e32 v9, 4, v9
	v_add_u32_e32 v7, 0x1000000, v3
	v_sub_u32_e32 v5, v9, v5
	v_ashrrev_i32_e32 v7, 8, v7
	v_add_u32_e32 v5, 0x3c000000, v5
	v_and_or_b32 v5, v7, s2, v5
	v_cmp_ne_u32_e32 vcc, 0, v3
	v_cndmask_b32_e32 v3, 0, v5, vcc
	s_brev_b32 s2, 1
	v_and_or_b32 v1, v1, s2, v3
.LBB21_1558:
	s_mov_b64 s[2:3], 0
.LBB21_1559:
	s_andn2_b64 vcc, exec, s[2:3]
	s_cbranch_vccnz .LBB21_1561
; %bb.1560:
	global_load_ubyte v1, v[14:15], off
	s_movk_i32 s2, 0x7f00
	s_brev_b32 s3, 16
	s_waitcnt vmcnt(0)
	v_lshlrev_b16_e32 v3, 8, v1
	v_lshlrev_b32_e32 v1, 25, v1
	v_lshrrev_b32_e32 v5, 4, v1
	v_and_or_b32 v7, v3, s2, 0.5
	v_or_b32_e32 v5, 0x70000000, v5
	v_add_f32_e32 v7, -0.5, v7
	v_mul_f32_e32 v5, 0x7800000, v5
	v_cmp_gt_u32_e32 vcc, s3, v1
	v_bfe_i32 v3, v3, 0, 16
	v_cndmask_b32_e32 v1, v5, v7, vcc
	s_brev_b32 s2, 1
	v_and_or_b32 v1, v3, s2, v1
.LBB21_1561:
	s_mov_b64 s[2:3], 0
	s_mov_b64 s[4:5], -1
.LBB21_1562:
	s_andn2_b64 vcc, exec, s[2:3]
	s_mov_b64 s[2:3], 0
	s_cbranch_vccnz .LBB21_1573
; %bb.1563:
	v_mov_b32_e32 v1, 14
	v_cmp_gt_i16_sdwa s[2:3], s21, v1 src0_sel:BYTE_0 src1_sel:DWORD
	s_and_b64 vcc, exec, s[2:3]
	s_cbranch_vccz .LBB21_1566
; %bb.1564:
	v_mov_b32_e32 v1, 15
	v_cmp_eq_u16_sdwa s[0:1], s21, v1 src0_sel:BYTE_0 src1_sel:DWORD
	s_and_b64 vcc, exec, s[0:1]
	s_cbranch_vccz .LBB21_1569
; %bb.1565:
	global_load_ushort v1, v[14:15], off
	s_mov_b64 s[0:1], 0
	s_mov_b64 s[4:5], -1
	s_waitcnt vmcnt(0)
	v_lshlrev_b32_e32 v1, 16, v1
	s_branch .LBB21_1570
.LBB21_1566:
	s_mov_b64 s[14:15], -1
                                        ; implicit-def: $vgpr1
	s_branch .LBB21_1571
.LBB21_1567:
	s_or_saveexec_b64 s[4:5], s[4:5]
	v_mov_b32_e32 v1, s16
	s_xor_b64 exec, exec, s[4:5]
	s_cbranch_execz .LBB21_1548
.LBB21_1568:
	v_cmp_ne_u16_e32 vcc, 0, v3
	s_andn2_b64 s[2:3], s[2:3], exec
	s_and_b64 s[14:15], vcc, exec
	v_mov_b32_e32 v1, 0
	s_or_b64 s[2:3], s[2:3], s[14:15]
	s_or_b64 exec, exec, s[4:5]
	s_and_saveexec_b64 s[4:5], s[2:3]
	s_cbranch_execnz .LBB21_1549
	s_branch .LBB21_1550
.LBB21_1569:
	s_mov_b64 s[0:1], -1
                                        ; implicit-def: $vgpr1
.LBB21_1570:
	s_mov_b64 s[14:15], 0
.LBB21_1571:
	s_mov_b64 s[2:3], 0
	s_and_b64 vcc, exec, s[14:15]
	s_cbranch_vccz .LBB21_1573
; %bb.1572:
	v_mov_b32_e32 v1, 11
	v_cmp_ne_u16_sdwa s[0:1], s21, v1 src0_sel:BYTE_0 src1_sel:DWORD
	s_mov_b64 s[2:3], -1
                                        ; implicit-def: $vgpr1
.LBB21_1573:
	s_and_b64 vcc, exec, s[0:1]
	s_cbranch_vccnz .LBB21_1652
; %bb.1574:
	s_andn2_b64 vcc, exec, s[2:3]
	s_cbranch_vccnz .LBB21_1576
.LBB21_1575:
	global_load_ubyte v1, v[14:15], off
	s_mov_b64 s[4:5], -1
	s_waitcnt vmcnt(0)
	v_cmp_ne_u16_e32 vcc, 0, v1
	v_cndmask_b32_e64 v1, 0, 1.0, vcc
.LBB21_1576:
	s_branch .LBB21_1504
.LBB21_1577:
	v_mov_b32_e32 v1, 5
	v_cmp_lt_i16_sdwa s[0:1], s21, v1 src0_sel:BYTE_0 src1_sel:DWORD
	s_and_b64 vcc, exec, s[0:1]
	s_cbranch_vccnz .LBB21_1582
; %bb.1578:
	v_mov_b32_e32 v1, 8
	v_cmp_lt_i16_sdwa s[0:1], s21, v1 src0_sel:BYTE_0 src1_sel:DWORD
	s_and_b64 vcc, exec, s[0:1]
	s_cbranch_vccnz .LBB21_1583
; %bb.1579:
	;; [unrolled: 5-line block ×3, first 2 shown]
	v_cmp_gt_i16_sdwa s[0:1], s21, v1 src0_sel:BYTE_0 src1_sel:DWORD
	s_and_b64 vcc, exec, s[0:1]
	s_cbranch_vccz .LBB21_1585
; %bb.1581:
	global_load_dwordx2 v[16:17], v[14:15], off
	s_mov_b64 s[0:1], 0
	s_waitcnt vmcnt(0)
	v_cvt_f32_f64_e32 v1, v[16:17]
	s_branch .LBB21_1586
.LBB21_1582:
	s_mov_b64 s[0:1], -1
                                        ; implicit-def: $vgpr1
	s_branch .LBB21_1604
.LBB21_1583:
	s_mov_b64 s[0:1], -1
                                        ; implicit-def: $vgpr1
	s_branch .LBB21_1592
.LBB21_1584:
	s_mov_b64 s[0:1], -1
                                        ; implicit-def: $vgpr1
	s_branch .LBB21_1589
.LBB21_1585:
	s_mov_b64 s[0:1], -1
                                        ; implicit-def: $vgpr1
.LBB21_1586:
	s_andn2_b64 vcc, exec, s[0:1]
	s_cbranch_vccnz .LBB21_1588
; %bb.1587:
	global_load_dword v1, v[14:15], off
.LBB21_1588:
	s_mov_b64 s[0:1], 0
.LBB21_1589:
	s_andn2_b64 vcc, exec, s[0:1]
	s_cbranch_vccnz .LBB21_1591
; %bb.1590:
	global_load_dword v1, v[14:15], off
	s_waitcnt vmcnt(0)
	v_cvt_f32_f16_e32 v1, v1
.LBB21_1591:
	s_mov_b64 s[0:1], 0
.LBB21_1592:
	s_andn2_b64 vcc, exec, s[0:1]
	s_cbranch_vccnz .LBB21_1603
; %bb.1593:
	s_waitcnt vmcnt(0)
	v_mov_b32_e32 v1, 6
	v_cmp_lt_i16_sdwa s[0:1], s21, v1 src0_sel:BYTE_0 src1_sel:DWORD
	s_and_b64 vcc, exec, s[0:1]
	s_cbranch_vccnz .LBB21_1596
; %bb.1594:
	v_cmp_gt_i16_sdwa s[0:1], s21, v1 src0_sel:BYTE_0 src1_sel:DWORD
	s_and_b64 vcc, exec, s[0:1]
	s_cbranch_vccz .LBB21_1597
; %bb.1595:
	global_load_dwordx2 v[16:17], v[14:15], off
	s_mov_b64 s[0:1], 0
	s_waitcnt vmcnt(0)
	v_cvt_f32_f64_e32 v1, v[16:17]
	s_branch .LBB21_1598
.LBB21_1596:
	s_mov_b64 s[0:1], -1
                                        ; implicit-def: $vgpr1
	s_branch .LBB21_1601
.LBB21_1597:
	s_mov_b64 s[0:1], -1
                                        ; implicit-def: $vgpr1
.LBB21_1598:
	s_andn2_b64 vcc, exec, s[0:1]
	s_cbranch_vccnz .LBB21_1600
; %bb.1599:
	global_load_dword v1, v[14:15], off
.LBB21_1600:
	s_mov_b64 s[0:1], 0
.LBB21_1601:
	s_andn2_b64 vcc, exec, s[0:1]
	s_cbranch_vccnz .LBB21_1603
; %bb.1602:
	global_load_ushort v1, v[14:15], off
	s_waitcnt vmcnt(0)
	v_cvt_f32_f16_e32 v1, v1
.LBB21_1603:
	s_mov_b64 s[0:1], 0
.LBB21_1604:
	s_andn2_b64 vcc, exec, s[0:1]
	s_cbranch_vccnz .LBB21_1624
; %bb.1605:
	s_waitcnt vmcnt(0)
	v_mov_b32_e32 v1, 2
	v_cmp_lt_i16_sdwa s[0:1], s21, v1 src0_sel:BYTE_0 src1_sel:DWORD
	s_and_b64 vcc, exec, s[0:1]
	s_cbranch_vccnz .LBB21_1609
; %bb.1606:
	v_mov_b32_e32 v1, 3
	v_cmp_lt_i16_sdwa s[0:1], s21, v1 src0_sel:BYTE_0 src1_sel:DWORD
	s_and_b64 vcc, exec, s[0:1]
	s_cbranch_vccnz .LBB21_1610
; %bb.1607:
	v_cmp_gt_i16_sdwa s[0:1], s21, v1 src0_sel:BYTE_0 src1_sel:DWORD
	s_and_b64 vcc, exec, s[0:1]
	s_cbranch_vccz .LBB21_1611
; %bb.1608:
	global_load_dwordx2 v[16:17], v[14:15], off
	s_mov_b64 s[0:1], 0
	s_waitcnt vmcnt(0)
	v_xor_b32_e32 v3, v16, v17
	v_ffbh_i32_e32 v1, v17
	v_ashrrev_i32_e32 v3, 31, v3
	v_add_u32_e32 v1, -1, v1
	v_add_u32_e32 v3, 32, v3
	v_min_u32_e32 v1, v1, v3
	v_lshlrev_b64 v[16:17], v1, v[16:17]
	v_min_u32_e32 v3, 1, v16
	v_or_b32_e32 v3, v17, v3
	v_cvt_f32_i32_e32 v3, v3
	v_sub_u32_e32 v1, 32, v1
	v_ldexp_f32 v1, v3, v1
	s_branch .LBB21_1612
.LBB21_1609:
	s_mov_b64 s[0:1], -1
                                        ; implicit-def: $vgpr1
	s_branch .LBB21_1618
.LBB21_1610:
	s_mov_b64 s[0:1], -1
                                        ; implicit-def: $vgpr1
	s_branch .LBB21_1615
.LBB21_1611:
	s_mov_b64 s[0:1], -1
                                        ; implicit-def: $vgpr1
.LBB21_1612:
	s_andn2_b64 vcc, exec, s[0:1]
	s_cbranch_vccnz .LBB21_1614
; %bb.1613:
	global_load_dword v1, v[14:15], off
	s_waitcnt vmcnt(0)
	v_cvt_f32_i32_e32 v1, v1
.LBB21_1614:
	s_mov_b64 s[0:1], 0
.LBB21_1615:
	s_andn2_b64 vcc, exec, s[0:1]
	s_cbranch_vccnz .LBB21_1617
; %bb.1616:
	global_load_sshort v1, v[14:15], off
	s_waitcnt vmcnt(0)
	v_cvt_f32_i32_e32 v1, v1
.LBB21_1617:
	s_mov_b64 s[0:1], 0
.LBB21_1618:
	s_andn2_b64 vcc, exec, s[0:1]
	s_cbranch_vccnz .LBB21_1624
; %bb.1619:
	v_mov_b32_e32 v1, 0
	v_cmp_gt_i16_sdwa s[0:1], s21, v1 src0_sel:BYTE_0 src1_sel:DWORD
	s_and_b64 vcc, exec, s[0:1]
	s_cbranch_vccz .LBB21_1621
; %bb.1620:
	global_load_sbyte v1, v[14:15], off
	s_mov_b64 s[0:1], 0
	s_waitcnt vmcnt(0)
	v_cvt_f32_i32_e32 v1, v1
	s_branch .LBB21_1622
.LBB21_1621:
	s_mov_b64 s[0:1], -1
                                        ; implicit-def: $vgpr1
.LBB21_1622:
	s_andn2_b64 vcc, exec, s[0:1]
	s_cbranch_vccnz .LBB21_1624
; %bb.1623:
	global_load_ubyte v1, v[14:15], off
	s_waitcnt vmcnt(0)
	v_cvt_f32_ubyte0_e32 v1, v1
.LBB21_1624:
.LBB21_1625:
	s_waitcnt vmcnt(0)
	v_cmp_gt_f32_e32 vcc, 0, v1
	v_cndmask_b32_e64 v1, v1, -v1, vcc
	s_mov_b32 s0, 0x40a00000
	v_cmp_ge_f32_e32 vcc, s0, v1
                                        ; implicit-def: $vgpr14
	s_and_saveexec_b64 s[0:1], vcc
	s_xor_b64 s[0:1], exec, s[0:1]
	s_cbranch_execz .LBB21_1631
; %bb.1626:
	s_mov_b32 s2, 0x3727c5ac
	v_cmp_ngt_f32_e32 vcc, s2, v1
	v_mul_f32_e32 v16, v1, v1
                                        ; implicit-def: $vgpr14
	s_and_saveexec_b64 s[2:3], vcc
	s_xor_b64 s[2:3], exec, s[2:3]
	s_cbranch_execz .LBB21_1628
; %bb.1627:
	v_mov_b32_e32 v1, 0x43f9c815
	v_fmac_f32_e32 v1, 0, v16
	v_mov_b32_e32 v3, 0x4829b65a
	v_fmac_f32_e32 v3, v16, v1
	;; [unrolled: 2-line block ×4, first 2 shown]
	s_mov_b32 s4, 0xcf8ee29d
	v_mul_f32_e32 v14, 0, v16
	v_mul_f32_e32 v15, v16, v3
	s_mov_b32 s5, 0x53f5f59c
	v_pk_add_f32 v[14:15], v[14:15], s[4:5]
	s_mov_b32 s4, 0x53e3ba8e
	s_mov_b32 s5, 0x578d3514
	v_pk_fma_f32 v[14:15], v[16:17], v[14:15], s[4:5] op_sel_hi:[0,1,1]
	s_mov_b32 s4, 0xd762b0a7
	s_mov_b32 s5, 0x5ae20a0c
	v_pk_fma_f32 v[14:15], v[16:17], v[14:15], s[4:5] op_sel_hi:[0,1,1]
	;; [unrolled: 3-line block ×3, first 2 shown]
	s_mov_b32 s4, 0xc0b90fdc
	s_mov_b32 s5, 0xc1f3c525
	v_pk_add_f32 v[16:17], v[16:17], s[4:5] op_sel_hi:[0,1]
	v_mul_f32_e32 v1, v16, v17
	v_mul_f32_e32 v1, v1, v14
	v_div_scale_f32 v3, s[4:5], v15, v15, v1
	v_rcp_f32_e32 v5, v3
                                        ; implicit-def: $vgpr16
	v_fma_f32 v7, -v3, v5, 1.0
	v_fmac_f32_e32 v5, v7, v5
	v_div_scale_f32 v7, vcc, v1, v15, v1
	v_mul_f32_e32 v9, v7, v5
	v_fma_f32 v11, -v3, v9, v7
	v_fmac_f32_e32 v9, v11, v5
	v_fma_f32 v3, -v3, v9, v7
	v_div_fmas_f32 v3, v3, v5, v9
	v_div_fixup_f32 v14, v3, v15, v1
.LBB21_1628:
	s_andn2_saveexec_b64 s[2:3], s[2:3]
; %bb.1629:
	s_mov_b32 s4, 0xbe800000
	v_fma_f32 v14, v16, s4, 1.0
; %bb.1630:
	s_or_b64 exec, exec, s[2:3]
                                        ; implicit-def: $vgpr1
.LBB21_1631:
	s_andn2_saveexec_b64 s[14:15], s[0:1]
	s_cbranch_execz .LBB21_1641
; %bb.1632:
	v_add_f32_e32 v3, 0xbf490fdb, v1
	s_brev_b32 s0, 18
	v_and_b32_e32 v5, 0x7fffffff, v3
	v_cmp_nlt_f32_e64 s[16:17], |v3|, s0
                                        ; implicit-def: $vgpr7
                                        ; implicit-def: $vgpr9
	s_and_saveexec_b64 s[0:1], s[16:17]
	s_xor_b64 s[18:19], exec, s[0:1]
	s_cbranch_execz .LBB21_1634
; %bb.1633:
	v_lshrrev_b32_e32 v7, 23, v5
	v_add_u32_e32 v7, 0xffffff88, v7
	v_not_b32_e32 v9, 63
	v_cmp_lt_u32_e32 vcc, 63, v7
	v_cndmask_b32_e32 v9, 0, v9, vcc
	v_add_u32_e32 v7, v9, v7
	v_not_b32_e32 v9, 31
	v_cmp_lt_u32_e64 s[0:1], 31, v7
	v_cndmask_b32_e64 v11, 0, v9, s[0:1]
	v_add_u32_e32 v7, v11, v7
	v_cmp_lt_u32_e64 s[2:3], 31, v7
	v_cndmask_b32_e64 v9, 0, v9, s[2:3]
	v_add_u32_e32 v7, v9, v7
	v_and_b32_e32 v9, 0x7fffff, v5
	v_or_b32_e32 v9, 0x800000, v9
	s_mov_b32 s4, 0xfe5163ab
	v_mad_u64_u32 v[16:17], s[4:5], v9, s4, 0
	v_mov_b32_e32 v15, 0
	v_mov_b32_e32 v14, v17
	s_mov_b32 s4, 0x3c439041
	v_mad_u64_u32 v[18:19], s[4:5], v9, s4, v[14:15]
	v_mov_b32_e32 v14, v19
	s_mov_b32 s4, 0xdb629599
	v_mad_u64_u32 v[20:21], s[4:5], v9, s4, v[14:15]
	;; [unrolled: 3-line block ×6, first 2 shown]
	v_cndmask_b32_e32 v11, v26, v22, vcc
	v_cndmask_b32_e32 v9, v14, v24, vcc
	;; [unrolled: 1-line block ×3, first 2 shown]
	v_cndmask_b32_e64 v13, v9, v11, s[0:1]
	v_cndmask_b32_e64 v9, v14, v9, s[0:1]
	v_cndmask_b32_e32 v14, v24, v20, vcc
	v_cndmask_b32_e64 v11, v11, v14, s[0:1]
	v_cndmask_b32_e64 v9, v9, v13, s[2:3]
	;; [unrolled: 1-line block ×3, first 2 shown]
	v_sub_u32_e32 v15, 32, v7
	v_alignbit_b32 v17, v9, v13, v15
	v_cmp_eq_u32_e64 s[4:5], 0, v7
	v_cndmask_b32_e64 v7, v17, v9, s[4:5]
	v_cndmask_b32_e32 v9, v22, v18, vcc
	v_cndmask_b32_e64 v14, v14, v9, s[0:1]
	v_cndmask_b32_e64 v11, v11, v14, s[2:3]
	v_alignbit_b32 v17, v13, v11, v15
	v_cndmask_b32_e32 v16, v20, v16, vcc
	v_cndmask_b32_e64 v13, v17, v13, s[4:5]
	v_bfe_u32 v19, v7, 29, 1
	v_cndmask_b32_e64 v9, v9, v16, s[0:1]
	v_alignbit_b32 v17, v7, v13, 30
	v_sub_u32_e32 v21, 0, v19
	v_cndmask_b32_e64 v9, v14, v9, s[2:3]
	v_xor_b32_e32 v22, v17, v21
	v_alignbit_b32 v14, v11, v9, v15
	v_cndmask_b32_e64 v11, v14, v11, s[4:5]
	v_ffbh_u32_e32 v14, v22
	v_add_u32_e32 v14, 1, v14
	v_cmp_ne_u32_e32 vcc, v17, v21
	v_alignbit_b32 v13, v13, v11, 30
	v_cndmask_b32_e32 v14, 33, v14, vcc
	v_alignbit_b32 v9, v11, v9, 30
	v_xor_b32_e32 v13, v13, v21
	v_sub_u32_e32 v15, 32, v14
	v_xor_b32_e32 v9, v9, v21
	v_alignbit_b32 v16, v22, v13, v15
	v_alignbit_b32 v9, v13, v9, v15
	;; [unrolled: 1-line block ×3, first 2 shown]
	v_ffbh_u32_e32 v13, v11
	v_min_u32_e32 v13, 32, v13
	v_lshrrev_b32_e32 v18, 29, v7
	v_sub_u32_e32 v15, 31, v13
	v_alignbit_b32 v9, v11, v9, v15
	v_lshlrev_b32_e32 v11, 31, v18
	v_or_b32_e32 v15, 0x33800000, v11
	v_add_lshl_u32 v13, v13, v14, 23
	v_lshrrev_b32_e32 v9, 9, v9
	v_sub_u32_e32 v13, v15, v13
	v_or_b32_e32 v9, v13, v9
	v_alignbit_b32 v13, v14, v16, 9
	v_or_b32_e32 v11, v13, v11
	v_xor_b32_e32 v11, 1.0, v11
	s_mov_b32 s0, 0x3fc90fda
	v_mul_f32_e32 v13, 0x3fc90fda, v11
	v_fma_f32 v14, v11, s0, -v13
	v_fmac_f32_e32 v14, 0x33a22168, v11
	v_fmac_f32_e32 v14, 0x3fc90fda, v9
	v_lshrrev_b32_e32 v7, 30, v7
	v_add_f32_e32 v9, v13, v14
	v_add_u32_e32 v7, v19, v7
	s_andn2_saveexec_b64 s[0:1], s[18:19]
	s_branch .LBB21_1635
.LBB21_1634:
	s_andn2_saveexec_b64 s[0:1], s[18:19]
.LBB21_1635:
	s_mov_b32 s2, 0x3f22f983
	v_mul_f32_e64 v7, |v3|, s2
	v_rndne_f32_e32 v11, v7
	s_mov_b32 s2, 0xbfc90fda
	v_cvt_i32_f32_e32 v7, v11
	v_fma_f32 v9, v11, s2, |v3|
	v_fmac_f32_e32 v9, 0xb3a22168, v11
	v_fmac_f32_e32 v9, 0xa7c234c4, v11
; %bb.1636:
	s_or_b64 exec, exec, s[0:1]
                                        ; implicit-def: $vgpr11
                                        ; implicit-def: $vgpr13
	s_and_saveexec_b64 s[0:1], s[16:17]
	s_xor_b64 s[16:17], exec, s[0:1]
	s_cbranch_execz .LBB21_1638
; %bb.1637:
	v_lshrrev_b32_e32 v11, 23, v5
	v_add_u32_e32 v11, 0xffffff88, v11
	v_not_b32_e32 v13, 63
	v_cmp_lt_u32_e32 vcc, 63, v11
	v_cndmask_b32_e32 v13, 0, v13, vcc
	v_add_u32_e32 v11, v13, v11
	v_not_b32_e32 v13, 31
	v_cmp_lt_u32_e64 s[0:1], 31, v11
	v_cndmask_b32_e64 v14, 0, v13, s[0:1]
	v_add_u32_e32 v11, v14, v11
	v_cmp_lt_u32_e64 s[2:3], 31, v11
	v_cndmask_b32_e64 v13, 0, v13, s[2:3]
	v_add_u32_e32 v11, v13, v11
	v_and_b32_e32 v13, 0x7fffff, v5
	v_or_b32_e32 v13, 0x800000, v13
	s_mov_b32 s4, 0xfe5163ab
	v_mad_u64_u32 v[16:17], s[4:5], v13, s4, 0
	v_mov_b32_e32 v15, 0
	v_mov_b32_e32 v14, v17
	s_mov_b32 s4, 0x3c439041
	v_mad_u64_u32 v[18:19], s[4:5], v13, s4, v[14:15]
	v_mov_b32_e32 v14, v19
	s_mov_b32 s4, 0xdb629599
	v_mad_u64_u32 v[20:21], s[4:5], v13, s4, v[14:15]
	;; [unrolled: 3-line block ×6, first 2 shown]
	v_cndmask_b32_e32 v17, v26, v22, vcc
	v_cndmask_b32_e32 v13, v14, v24, vcc
	;; [unrolled: 1-line block ×3, first 2 shown]
	v_cndmask_b32_e64 v14, v13, v17, s[0:1]
	v_cndmask_b32_e64 v13, v15, v13, s[0:1]
	v_cndmask_b32_e32 v15, v24, v20, vcc
	v_cndmask_b32_e64 v17, v17, v15, s[0:1]
	v_cndmask_b32_e64 v13, v13, v14, s[2:3]
	;; [unrolled: 1-line block ×3, first 2 shown]
	v_sub_u32_e32 v19, 32, v11
	v_alignbit_b32 v21, v13, v14, v19
	v_cmp_eq_u32_e64 s[4:5], 0, v11
	v_cndmask_b32_e64 v11, v21, v13, s[4:5]
	v_cndmask_b32_e32 v13, v22, v18, vcc
	v_cndmask_b32_e64 v15, v15, v13, s[0:1]
	v_cndmask_b32_e64 v17, v17, v15, s[2:3]
	v_alignbit_b32 v18, v14, v17, v19
	v_cndmask_b32_e64 v14, v18, v14, s[4:5]
	v_bfe_u32 v22, v11, 29, 1
	v_cndmask_b32_e32 v16, v20, v16, vcc
	v_alignbit_b32 v18, v11, v14, 30
	v_sub_u32_e32 v23, 0, v22
	v_cndmask_b32_e64 v13, v13, v16, s[0:1]
	v_xor_b32_e32 v24, v18, v23
	v_cndmask_b32_e64 v13, v15, v13, s[2:3]
	v_alignbit_b32 v15, v17, v13, v19
	v_ffbh_u32_e32 v16, v24
	v_cndmask_b32_e64 v15, v15, v17, s[4:5]
	v_add_u32_e32 v16, 1, v16
	v_cmp_ne_u32_e32 vcc, v18, v23
	v_alignbit_b32 v14, v14, v15, 30
	v_cndmask_b32_e32 v16, 33, v16, vcc
	v_alignbit_b32 v13, v15, v13, 30
	v_xor_b32_e32 v14, v14, v23
	v_sub_u32_e32 v17, 32, v16
	v_xor_b32_e32 v13, v13, v23
	v_alignbit_b32 v18, v24, v14, v17
	v_alignbit_b32 v13, v14, v13, v17
	;; [unrolled: 1-line block ×3, first 2 shown]
	v_ffbh_u32_e32 v15, v14
	v_min_u32_e32 v15, 32, v15
	v_lshrrev_b32_e32 v21, 29, v11
	v_sub_u32_e32 v17, 31, v15
	v_alignbit_b32 v13, v14, v13, v17
	v_lshlrev_b32_e32 v14, 31, v21
	v_or_b32_e32 v17, 0x33800000, v14
	v_add_lshl_u32 v15, v15, v16, 23
	v_lshrrev_b32_e32 v13, 9, v13
	v_sub_u32_e32 v15, v17, v15
	v_or_b32_e32 v13, v15, v13
	v_alignbit_b32 v15, v16, v18, 9
	v_or_b32_e32 v14, v15, v14
	v_xor_b32_e32 v14, 1.0, v14
	s_mov_b32 s0, 0x3fc90fda
	v_mul_f32_e32 v15, 0x3fc90fda, v14
	v_fma_f32 v16, v14, s0, -v15
	v_fmac_f32_e32 v16, 0x33a22168, v14
	v_fmac_f32_e32 v16, 0x3fc90fda, v13
	v_lshrrev_b32_e32 v11, 30, v11
	v_add_f32_e32 v13, v15, v16
	v_add_u32_e32 v11, v22, v11
	s_andn2_saveexec_b64 s[0:1], s[16:17]
	s_cbranch_execnz .LBB21_1639
	s_branch .LBB21_1640
.LBB21_1638:
	s_andn2_saveexec_b64 s[0:1], s[16:17]
.LBB21_1639:
	s_mov_b32 s2, 0x3f22f983
	v_mul_f32_e64 v11, |v3|, s2
	v_rndne_f32_e32 v14, v11
	s_mov_b32 s2, 0xbfc90fda
	v_cvt_i32_f32_e32 v11, v14
	v_fma_f32 v13, v14, s2, |v3|
	v_fmac_f32_e32 v13, 0xb3a22168, v14
	v_fmac_f32_e32 v13, 0xa7c234c4, v14
.LBB21_1640:
	s_or_b64 exec, exec, s[0:1]
	v_mul_f32_e32 v14, v1, v1
	s_mov_b32 s2, 0x41c80000
	v_div_scale_f32 v15, s[0:1], v14, v14, s2
	v_rcp_f32_e32 v16, v15
	v_mov_b32_e32 v23, 0xbf000004
	s_mov_b32 s4, 0xc0a00000
	v_fma_f32 v17, -v15, v16, 1.0
	v_fmac_f32_e32 v16, v17, v16
	v_div_scale_f32 v17, vcc, s2, v14, s2
	v_mul_f32_e32 v18, v17, v16
	v_fma_f32 v19, -v15, v18, v17
	v_fmac_f32_e32 v18, v19, v16
	v_fma_f32 v15, -v15, v18, v17
	v_div_fmas_f32 v15, v15, v16, v18
	v_div_fixup_f32 v14, v15, v14, s2
	v_mov_b32_e32 v15, 0x3a50e985
	v_fmac_f32_e32 v15, 0, v14
	v_mov_b32_e32 v16, 0x3da9a586
	v_fmac_f32_e32 v16, v14, v15
	;; [unrolled: 2-line block ×12, first 2 shown]
	v_fma_f32 v15, v14, v17, 1.0
	v_mov_b32_e32 v17, 0xbc3a3a12
	v_fmac_f32_e32 v17, 0, v14
	v_mov_b32_e32 v18, 0xbfa429da
	v_fmac_f32_e32 v18, v14, v17
	;; [unrolled: 2-line block ×9, first 2 shown]
	v_mov_b32_e32 v19, 0x44561b86
	v_fma_f32 v16, v14, v16, 1.0
	v_fmac_f32_e32 v19, v14, v17
	v_mov_b32_e32 v17, 0x4572a66e
	v_div_scale_f32 v20, s[0:1], v15, v15, v16
	v_fmac_f32_e32 v17, v14, v19
	v_mov_b32_e32 v19, 0x45e243be
	v_rcp_f32_e32 v21, v20
	v_fmac_f32_e32 v19, v14, v17
	v_mov_b32_e32 v17, 0x45b955d1
	v_fmac_f32_e32 v17, v14, v19
	v_mov_b32_e32 v19, 0x4500e17e
	;; [unrolled: 2-line block ×3, first 2 shown]
	v_fmac_f32_e32 v17, v14, v19
	v_fma_f32 v14, -v20, v21, 1.0
	v_fmac_f32_e32 v21, v14, v21
	v_div_scale_f32 v14, vcc, v16, v15, v16
	v_mul_f32_e32 v19, v14, v21
	v_fma_f32 v22, -v20, v19, v14
	v_fmac_f32_e32 v19, v22, v21
	v_fma_f32 v14, -v20, v19, v14
	v_div_fmas_f32 v14, v14, v21, v19
	v_div_fixup_f32 v14, v14, v15, v16
	v_mul_f32_e32 v15, v9, v9
	v_mov_b32_e32 v21, 0xbab64f3b
	v_mov_b32_e32 v19, 0x3c0881c4
	v_fmac_f32_e32 v21, 0x37d75334, v15
	v_mov_b32_e32 v22, 0x3d2aabf7
	v_fmac_f32_e32 v19, 0xb94c1982, v15
	v_mov_b32_e32 v20, 0xbe2aaa9d
	v_fma_f32 v21, v15, v21, v22
	v_fma_f32 v19, v15, v19, v20
	;; [unrolled: 1-line block ×3, first 2 shown]
	v_mul_f32_e32 v19, v15, v19
	v_fma_f32 v15, v15, v21, 1.0
	v_and_b32_e32 v21, 1, v7
	v_fmac_f32_e32 v9, v9, v19
	v_cmp_eq_u32_e32 vcc, 0, v21
	v_lshlrev_b32_e32 v7, 30, v7
	v_cndmask_b32_e64 v9, -v9, v15, vcc
	v_and_b32_e32 v7, 0x80000000, v7
	v_xor_b32_e32 v7, v7, v9
	v_div_scale_f32 v9, s[0:1], v1, v1, s4
	v_rcp_f32_e32 v15, v9
	s_movk_i32 s2, 0x1f8
	v_cmp_class_f32_e64 s[0:1], v3, s2
	v_mov_b32_e32 v16, 0x3c0881c4
	v_fma_f32 v24, -v9, v15, 1.0
	v_fmac_f32_e32 v15, v24, v15
	v_div_scale_f32 v24, vcc, s4, v1, s4
	v_mul_f32_e32 v25, v24, v15
	v_fma_f32 v26, -v9, v25, v24
	v_fmac_f32_e32 v25, v26, v15
	v_fma_f32 v9, -v9, v25, v24
	v_div_scale_f32 v24, s[2:3], v17, v17, v18
	v_rcp_f32_e32 v26, v24
	v_div_fmas_f32 v9, v9, v15, v25
	v_div_fixup_f32 v9, v9, v1, s4
	v_mov_b32_e32 v19, 0xbab64f3b
	v_fma_f32 v15, -v24, v26, 1.0
	v_fmac_f32_e32 v26, v15, v26
	v_div_scale_f32 v15, vcc, v18, v17, v18
	v_mul_f32_e32 v25, v15, v26
	v_fma_f32 v27, -v24, v25, v15
	v_fmac_f32_e32 v25, v27, v26
	v_fma_f32 v15, -v24, v25, v15
	v_div_fmas_f32 v15, v15, v26, v25
	v_div_fixup_f32 v15, v15, v17, v18
	v_mul_f32_e32 v9, v9, v15
	v_mul_f32_e32 v15, v13, v13
	v_fmac_f32_e32 v16, 0xb94c1982, v15
	v_fmac_f32_e32 v20, v15, v16
	;; [unrolled: 1-line block ×3, first 2 shown]
	v_mul_f32_e32 v16, v15, v20
	v_fmac_f32_e32 v22, v15, v19
	v_fmac_f32_e32 v13, v13, v16
	;; [unrolled: 1-line block ×3, first 2 shown]
	v_and_b32_e32 v16, 1, v11
	v_lshlrev_b32_e32 v11, 30, v11
	v_fma_f32 v15, v15, v23, 1.0
	v_cmp_eq_u32_e32 vcc, 0, v16
	v_and_b32_e32 v11, 0x80000000, v11
	v_xor_b32_e32 v3, v5, v3
	v_cndmask_b32_e32 v13, v15, v13, vcc
	v_xor_b32_e32 v3, v3, v11
	v_mov_b32_e32 v21, 0x7fc00000
	v_xor_b32_e32 v3, v3, v13
	v_cndmask_b32_e64 v7, v21, v7, s[0:1]
	v_cndmask_b32_e64 v3, v21, v3, s[0:1]
	s_mov_b32 s0, 0xf800000
	v_mul_f32_e32 v5, 0x4f800000, v1
	v_cmp_gt_f32_e32 vcc, s0, v1
	v_cndmask_b32_e32 v1, v1, v5, vcc
	v_sqrt_f32_e32 v5, v1
	v_mul_f32_e32 v3, v9, v3
	v_fmac_f32_e32 v3, v14, v7
	v_mul_f32_e32 v3, 0x3f4c422a, v3
	v_add_u32_e32 v7, -1, v5
	v_fma_f32 v9, -v7, v5, v1
	v_cmp_ge_f32_e64 s[0:1], 0, v9
	v_add_u32_e32 v9, 1, v5
	v_cndmask_b32_e64 v7, v5, v7, s[0:1]
	v_fma_f32 v5, -v9, v5, v1
	v_cmp_lt_f32_e64 s[0:1], 0, v5
	v_cndmask_b32_e64 v5, v7, v9, s[0:1]
	v_mul_f32_e32 v7, 0x37800000, v5
	v_cndmask_b32_e32 v5, v5, v7, vcc
	v_mov_b32_e32 v7, 0x260
	v_cmp_class_f32_e32 vcc, v1, v7
	v_cndmask_b32_e32 v1, v5, v1, vcc
	v_div_scale_f32 v5, s[0:1], v1, v1, v3
	v_rcp_f32_e32 v7, v5
	v_fma_f32 v9, -v5, v7, 1.0
	v_fmac_f32_e32 v7, v9, v7
	v_div_scale_f32 v9, vcc, v3, v1, v3
	v_mul_f32_e32 v11, v9, v7
	v_fma_f32 v13, -v5, v11, v9
	v_fmac_f32_e32 v11, v13, v7
	v_fma_f32 v5, -v5, v11, v9
	v_div_fmas_f32 v5, v5, v7, v11
	v_div_fixup_f32 v14, v5, v1, v3
.LBB21_1641:
	s_or_b64 exec, exec, s[14:15]
	v_mov_b32_e32 v1, s11
	v_add_co_u32_e32 v12, vcc, s10, v12
	v_addc_co_u32_e32 v13, vcc, 0, v1, vcc
	v_mov_b32_e32 v1, 11
	v_cmp_lt_i16_sdwa s[0:1], s21, v1 src0_sel:BYTE_0 src1_sel:DWORD
	s_and_b64 vcc, exec, s[0:1]
	s_cbranch_vccnz .LBB21_1648
; %bb.1642:
	v_mov_b32_e32 v1, 25
	v_cmp_gt_i16_sdwa s[0:1], s21, v1 src0_sel:BYTE_0 src1_sel:DWORD
	s_mov_b64 s[2:3], 0
	s_and_b64 vcc, exec, s[0:1]
	s_cbranch_vccz .LBB21_1649
; %bb.1643:
	v_mov_b32_e32 v1, 28
	v_cmp_gt_i16_sdwa s[0:1], s21, v1 src0_sel:BYTE_0 src1_sel:DWORD
	s_and_b64 vcc, exec, s[0:1]
	s_cbranch_vccz .LBB21_1650
; %bb.1644:
	v_mov_b32_e32 v1, 43
	v_cmp_gt_i16_sdwa s[0:1], s21, v1 src0_sel:BYTE_0 src1_sel:DWORD
	;; [unrolled: 5-line block ×3, first 2 shown]
	s_and_b64 vcc, exec, s[0:1]
	s_cbranch_vccz .LBB21_1653
; %bb.1646:
	v_mov_b32_e32 v1, 46
	v_cmp_eq_u16_sdwa s[0:1], s21, v1 src0_sel:BYTE_0 src1_sel:DWORD
	s_mov_b64 s[10:11], 0
	s_and_b64 vcc, exec, s[0:1]
	s_cbranch_vccz .LBB21_1654
; %bb.1647:
	global_load_dword v1, v[12:13], off
	s_mov_b64 s[0:1], 0
	s_mov_b64 s[4:5], -1
	s_waitcnt vmcnt(0)
	v_lshlrev_b32_e32 v1, 16, v1
	s_branch .LBB21_1655
.LBB21_1648:
	s_mov_b64 s[0:1], -1
	s_mov_b64 s[4:5], 0
                                        ; implicit-def: $vgpr1
	s_branch .LBB21_1721
.LBB21_1649:
	s_mov_b64 s[10:11], -1
	s_mov_b64 s[4:5], 0
	s_mov_b64 s[0:1], 0
                                        ; implicit-def: $vgpr1
	s_branch .LBB21_1684
.LBB21_1650:
	s_mov_b64 s[10:11], -1
	s_mov_b64 s[4:5], 0
	s_mov_b64 s[0:1], 0
                                        ; implicit-def: $vgpr1
	s_branch .LBB21_1665
.LBB21_1651:
	s_mov_b64 s[10:11], -1
	s_mov_b64 s[4:5], 0
	s_mov_b64 s[0:1], 0
                                        ; implicit-def: $vgpr1
	s_branch .LBB21_1660
.LBB21_1652:
	s_trap 2
	s_or_b64 s[12:13], s[12:13], exec
                                        ; implicit-def: $vgpr1
	s_cbranch_execz .LBB21_1575
	s_branch .LBB21_1576
.LBB21_1653:
	s_mov_b64 s[10:11], -1
	s_mov_b64 s[4:5], 0
	s_mov_b64 s[0:1], 0
                                        ; implicit-def: $vgpr1
	s_branch .LBB21_1655
.LBB21_1654:
	s_mov_b64 s[0:1], -1
                                        ; implicit-def: $vgpr1
	s_mov_b64 s[4:5], 0
.LBB21_1655:
	s_and_b64 vcc, exec, s[10:11]
	s_cbranch_vccz .LBB21_1659
; %bb.1656:
	v_mov_b32_e32 v1, 44
	v_cmp_eq_u16_sdwa s[0:1], s21, v1 src0_sel:BYTE_0 src1_sel:DWORD
	s_and_b64 vcc, exec, s[0:1]
	s_cbranch_vccz .LBB21_1658
; %bb.1657:
	global_load_ubyte v1, v[12:13], off
	s_movk_i32 s4, 0xff
	v_mov_b32_e32 v3, 0x7f800001
	v_mov_b32_e32 v5, 0x400000
	s_mov_b64 s[0:1], 0
	s_waitcnt vmcnt(0)
	v_lshlrev_b32_e32 v7, 23, v1
	v_cmp_ne_u32_e32 vcc, s4, v1
	v_cndmask_b32_e32 v3, v3, v7, vcc
	v_cmp_ne_u32_e32 vcc, 0, v1
	v_cndmask_b32_e32 v1, v5, v3, vcc
	s_mov_b64 s[4:5], -1
	s_branch .LBB21_1659
.LBB21_1658:
	s_mov_b64 s[0:1], -1
                                        ; implicit-def: $vgpr1
.LBB21_1659:
	s_mov_b64 s[10:11], 0
.LBB21_1660:
	s_and_b64 vcc, exec, s[10:11]
	s_cbranch_vccz .LBB21_1664
; %bb.1661:
	v_mov_b32_e32 v1, 29
	v_cmp_eq_u16_sdwa s[0:1], s21, v1 src0_sel:BYTE_0 src1_sel:DWORD
	s_and_b64 vcc, exec, s[0:1]
	s_cbranch_vccz .LBB21_1663
; %bb.1662:
	global_load_dwordx2 v[16:17], v[12:13], off
	s_mov_b64 s[0:1], 0
	s_mov_b64 s[4:5], -1
	s_mov_b64 s[10:11], 0
	s_waitcnt vmcnt(0)
	v_ffbh_u32_e32 v1, v17
	v_min_u32_e32 v1, 32, v1
	v_lshlrev_b64 v[16:17], v1, v[16:17]
	v_min_u32_e32 v3, 1, v16
	v_or_b32_e32 v3, v17, v3
	v_cvt_f32_u32_e32 v3, v3
	v_sub_u32_e32 v1, 32, v1
	v_ldexp_f32 v1, v3, v1
	s_branch .LBB21_1665
.LBB21_1663:
	s_mov_b64 s[0:1], -1
                                        ; implicit-def: $vgpr1
.LBB21_1664:
	s_mov_b64 s[10:11], 0
.LBB21_1665:
	s_and_b64 vcc, exec, s[10:11]
	s_cbranch_vccz .LBB21_1683
; %bb.1666:
	v_mov_b32_e32 v1, 27
	v_cmp_lt_i16_sdwa s[4:5], s21, v1 src0_sel:BYTE_0 src1_sel:DWORD
	s_and_b64 vcc, exec, s[4:5]
	s_cbranch_vccnz .LBB21_1669
; %bb.1667:
	v_cmp_gt_i16_sdwa s[4:5], s21, v1 src0_sel:BYTE_0 src1_sel:DWORD
	s_and_b64 vcc, exec, s[4:5]
	s_cbranch_vccz .LBB21_1670
; %bb.1668:
	global_load_dword v1, v[12:13], off
	s_mov_b64 s[4:5], 0
	s_waitcnt vmcnt(0)
	v_cvt_f32_u32_e32 v1, v1
	s_branch .LBB21_1671
.LBB21_1669:
	s_mov_b64 s[4:5], -1
                                        ; implicit-def: $vgpr1
	s_branch .LBB21_1674
.LBB21_1670:
	s_mov_b64 s[4:5], -1
                                        ; implicit-def: $vgpr1
.LBB21_1671:
	s_andn2_b64 vcc, exec, s[4:5]
	s_cbranch_vccnz .LBB21_1673
; %bb.1672:
	global_load_ushort v1, v[12:13], off
	s_waitcnt vmcnt(0)
	v_cvt_f32_u32_e32 v1, v1
.LBB21_1673:
	s_mov_b64 s[4:5], 0
.LBB21_1674:
	s_andn2_b64 vcc, exec, s[4:5]
	s_cbranch_vccnz .LBB21_1682
; %bb.1675:
	global_load_ubyte v3, v[12:13], off
	s_movk_i32 s4, 0x7f
                                        ; implicit-def: $sgpr16
	s_waitcnt vmcnt(0)
	v_cmp_lt_i16_e32 vcc, s4, v3
	s_mov_b64 s[4:5], 0
	s_and_saveexec_b64 s[10:11], vcc
	s_xor_b64 s[10:11], exec, s[10:11]
	s_cbranch_execz .LBB21_1696
; %bb.1676:
	s_movk_i32 s4, 0x80
	v_cmp_eq_u16_e32 vcc, s4, v3
	s_mov_b64 s[4:5], -1
                                        ; implicit-def: $sgpr16
	s_and_saveexec_b64 s[14:15], vcc
; %bb.1677:
	s_mov_b32 s16, 0x7f800001
	s_xor_b64 s[4:5], exec, -1
; %bb.1678:
	s_or_b64 exec, exec, s[14:15]
	s_and_b64 s[4:5], s[4:5], exec
	s_or_saveexec_b64 s[10:11], s[10:11]
	v_mov_b32_e32 v1, s16
	s_xor_b64 exec, exec, s[10:11]
	s_cbranch_execnz .LBB21_1697
.LBB21_1679:
	s_or_b64 exec, exec, s[10:11]
	s_and_saveexec_b64 s[10:11], s[4:5]
	s_cbranch_execz .LBB21_1681
.LBB21_1680:
	v_lshlrev_b32_e32 v1, 24, v3
	v_and_b32_e32 v3, 0xffff, v3
	v_and_b32_e32 v5, 7, v3
	v_ffbh_u32_e32 v9, v5
	v_min_u32_e32 v9, 32, v9
	v_subrev_u32_e32 v11, 28, v9
	v_bfe_u32 v7, v3, 3, 4
	v_lshlrev_b32_e32 v3, v11, v3
	v_sub_u32_e32 v9, 29, v9
	v_and_b32_e32 v3, 7, v3
	v_cmp_eq_u32_e32 vcc, 0, v7
	v_cndmask_b32_e32 v7, v7, v9, vcc
	v_cndmask_b32_e32 v3, v5, v3, vcc
	v_mov_b32_e32 v5, 0x3b800000
	v_lshlrev_b32_e32 v3, 20, v3
	v_and_b32_e32 v1, 0x80000000, v1
	v_lshl_add_u32 v5, v7, 23, v5
	v_or3_b32 v1, v1, v5, v3
.LBB21_1681:
	s_or_b64 exec, exec, s[10:11]
.LBB21_1682:
	s_mov_b64 s[4:5], -1
.LBB21_1683:
	s_mov_b64 s[10:11], 0
.LBB21_1684:
	s_and_b64 vcc, exec, s[10:11]
	s_cbranch_vccz .LBB21_1717
; %bb.1685:
	v_mov_b32_e32 v1, 22
	v_cmp_gt_i16_sdwa s[2:3], s21, v1 src0_sel:BYTE_0 src1_sel:DWORD
	s_and_b64 vcc, exec, s[2:3]
	s_cbranch_vccz .LBB21_1695
; %bb.1686:
	v_mov_b32_e32 v1, 24
	v_cmp_lt_i16_sdwa s[2:3], s21, v1 src0_sel:BYTE_0 src1_sel:DWORD
	s_and_b64 vcc, exec, s[2:3]
	s_cbranch_vccnz .LBB21_1698
; %bb.1687:
	v_cmp_gt_i16_sdwa s[2:3], s21, v1 src0_sel:BYTE_0 src1_sel:DWORD
	s_and_b64 vcc, exec, s[2:3]
	s_cbranch_vccz .LBB21_1699
; %bb.1688:
	global_load_ubyte v3, v[12:13], off
	s_movk_i32 s2, 0x7f
                                        ; implicit-def: $sgpr14
	s_waitcnt vmcnt(0)
	v_cmp_lt_i16_e32 vcc, s2, v3
	s_mov_b64 s[2:3], 0
	s_and_saveexec_b64 s[4:5], vcc
	s_xor_b64 s[4:5], exec, s[4:5]
	s_cbranch_execz .LBB21_1711
; %bb.1689:
	s_movk_i32 s2, 0x80
	v_cmp_eq_u16_e32 vcc, s2, v3
	s_mov_b64 s[2:3], -1
                                        ; implicit-def: $sgpr14
	s_and_saveexec_b64 s[10:11], vcc
; %bb.1690:
	s_mov_b32 s14, 0x7f800001
	s_xor_b64 s[2:3], exec, -1
; %bb.1691:
	s_or_b64 exec, exec, s[10:11]
	s_and_b64 s[2:3], s[2:3], exec
	s_or_saveexec_b64 s[4:5], s[4:5]
	v_mov_b32_e32 v1, s14
	s_xor_b64 exec, exec, s[4:5]
	s_cbranch_execnz .LBB21_1712
.LBB21_1692:
	s_or_b64 exec, exec, s[4:5]
	s_and_saveexec_b64 s[4:5], s[2:3]
	s_cbranch_execz .LBB21_1694
.LBB21_1693:
	v_lshlrev_b32_e32 v1, 24, v3
	v_and_b32_e32 v3, 0xffff, v3
	v_and_b32_e32 v5, 3, v3
	v_ffbh_u32_e32 v9, v5
	v_min_u32_e32 v9, 32, v9
	v_subrev_u32_e32 v11, 29, v9
	v_bfe_u32 v7, v3, 2, 5
	v_lshlrev_b32_e32 v3, v11, v3
	v_sub_u32_e32 v9, 30, v9
	v_and_b32_e32 v3, 3, v3
	v_cmp_eq_u32_e32 vcc, 0, v7
	v_cndmask_b32_e32 v7, v7, v9, vcc
	v_cndmask_b32_e32 v3, v5, v3, vcc
	v_mov_b32_e32 v5, 0x37800000
	v_lshlrev_b32_e32 v3, 21, v3
	v_and_b32_e32 v1, 0x80000000, v1
	v_lshl_add_u32 v5, v7, 23, v5
	v_or3_b32 v1, v1, v5, v3
.LBB21_1694:
	s_or_b64 exec, exec, s[4:5]
	s_mov_b64 s[2:3], 0
	s_branch .LBB21_1700
.LBB21_1695:
	s_mov_b64 s[2:3], -1
                                        ; implicit-def: $vgpr1
	s_branch .LBB21_1706
.LBB21_1696:
	s_or_saveexec_b64 s[10:11], s[10:11]
	v_mov_b32_e32 v1, s16
	s_xor_b64 exec, exec, s[10:11]
	s_cbranch_execz .LBB21_1679
.LBB21_1697:
	v_cmp_ne_u16_e32 vcc, 0, v3
	s_andn2_b64 s[4:5], s[4:5], exec
	s_and_b64 s[14:15], vcc, exec
	v_mov_b32_e32 v1, 0
	s_or_b64 s[4:5], s[4:5], s[14:15]
	s_or_b64 exec, exec, s[10:11]
	s_and_saveexec_b64 s[10:11], s[4:5]
	s_cbranch_execnz .LBB21_1680
	s_branch .LBB21_1681
.LBB21_1698:
	s_mov_b64 s[2:3], -1
                                        ; implicit-def: $vgpr1
	s_branch .LBB21_1703
.LBB21_1699:
	s_mov_b64 s[2:3], -1
                                        ; implicit-def: $vgpr1
.LBB21_1700:
	s_and_b64 vcc, exec, s[2:3]
	s_cbranch_vccz .LBB21_1702
; %bb.1701:
	global_load_ubyte v1, v[12:13], off
	s_mov_b32 s2, 0x7f800000
	s_waitcnt vmcnt(0)
	v_lshlrev_b32_e32 v1, 24, v1
	v_and_b32_e32 v3, 0x7f000000, v1
	v_ffbh_u32_e32 v5, v3
	v_min_u32_e32 v5, 32, v5
	v_sub_u32_e64 v5, v5, 4 clamp
	v_lshlrev_b32_e32 v9, v5, v3
	v_lshlrev_b32_e32 v5, 23, v5
	v_lshrrev_b32_e32 v9, 4, v9
	v_add_u32_e32 v7, 0x1000000, v3
	v_sub_u32_e32 v5, v9, v5
	v_ashrrev_i32_e32 v7, 8, v7
	v_add_u32_e32 v5, 0x3c000000, v5
	v_and_or_b32 v5, v7, s2, v5
	v_cmp_ne_u32_e32 vcc, 0, v3
	v_cndmask_b32_e32 v3, 0, v5, vcc
	s_brev_b32 s2, 1
	v_and_or_b32 v1, v1, s2, v3
.LBB21_1702:
	s_mov_b64 s[2:3], 0
.LBB21_1703:
	s_andn2_b64 vcc, exec, s[2:3]
	s_cbranch_vccnz .LBB21_1705
; %bb.1704:
	global_load_ubyte v1, v[12:13], off
	s_movk_i32 s2, 0x7f00
	s_brev_b32 s3, 16
	s_waitcnt vmcnt(0)
	v_lshlrev_b16_e32 v3, 8, v1
	v_lshlrev_b32_e32 v1, 25, v1
	v_lshrrev_b32_e32 v5, 4, v1
	v_and_or_b32 v7, v3, s2, 0.5
	v_or_b32_e32 v5, 0x70000000, v5
	v_add_f32_e32 v7, -0.5, v7
	v_mul_f32_e32 v5, 0x7800000, v5
	v_cmp_gt_u32_e32 vcc, s3, v1
	v_bfe_i32 v3, v3, 0, 16
	v_cndmask_b32_e32 v1, v5, v7, vcc
	s_brev_b32 s2, 1
	v_and_or_b32 v1, v3, s2, v1
.LBB21_1705:
	s_mov_b64 s[2:3], 0
	s_mov_b64 s[4:5], -1
.LBB21_1706:
	s_andn2_b64 vcc, exec, s[2:3]
	s_mov_b64 s[2:3], 0
	s_cbranch_vccnz .LBB21_1717
; %bb.1707:
	v_mov_b32_e32 v1, 14
	v_cmp_gt_i16_sdwa s[2:3], s21, v1 src0_sel:BYTE_0 src1_sel:DWORD
	s_and_b64 vcc, exec, s[2:3]
	s_cbranch_vccz .LBB21_1710
; %bb.1708:
	v_mov_b32_e32 v1, 15
	v_cmp_eq_u16_sdwa s[0:1], s21, v1 src0_sel:BYTE_0 src1_sel:DWORD
	s_and_b64 vcc, exec, s[0:1]
	s_cbranch_vccz .LBB21_1713
; %bb.1709:
	global_load_ushort v1, v[12:13], off
	s_mov_b64 s[0:1], 0
	s_mov_b64 s[4:5], -1
	s_waitcnt vmcnt(0)
	v_lshlrev_b32_e32 v1, 16, v1
	s_branch .LBB21_1714
.LBB21_1710:
	s_mov_b64 s[10:11], -1
                                        ; implicit-def: $vgpr1
	s_branch .LBB21_1715
.LBB21_1711:
	s_or_saveexec_b64 s[4:5], s[4:5]
	v_mov_b32_e32 v1, s14
	s_xor_b64 exec, exec, s[4:5]
	s_cbranch_execz .LBB21_1692
.LBB21_1712:
	v_cmp_ne_u16_e32 vcc, 0, v3
	s_andn2_b64 s[2:3], s[2:3], exec
	s_and_b64 s[10:11], vcc, exec
	v_mov_b32_e32 v1, 0
	s_or_b64 s[2:3], s[2:3], s[10:11]
	s_or_b64 exec, exec, s[4:5]
	s_and_saveexec_b64 s[4:5], s[2:3]
	s_cbranch_execnz .LBB21_1693
	s_branch .LBB21_1694
.LBB21_1713:
	s_mov_b64 s[0:1], -1
                                        ; implicit-def: $vgpr1
.LBB21_1714:
	s_mov_b64 s[10:11], 0
.LBB21_1715:
	s_mov_b64 s[2:3], 0
	s_and_b64 vcc, exec, s[10:11]
	s_cbranch_vccz .LBB21_1717
; %bb.1716:
	v_mov_b32_e32 v1, 11
	v_cmp_ne_u16_sdwa s[0:1], s21, v1 src0_sel:BYTE_0 src1_sel:DWORD
	s_mov_b64 s[2:3], -1
                                        ; implicit-def: $vgpr1
.LBB21_1717:
	s_and_b64 vcc, exec, s[0:1]
	s_cbranch_vccnz .LBB21_1843
; %bb.1718:
	s_andn2_b64 vcc, exec, s[2:3]
	s_cbranch_vccnz .LBB21_1720
.LBB21_1719:
	global_load_ubyte v1, v[12:13], off
	s_mov_b64 s[4:5], -1
	s_waitcnt vmcnt(0)
	v_cmp_ne_u16_e32 vcc, 0, v1
	v_cndmask_b32_e64 v1, 0, 1.0, vcc
.LBB21_1720:
	s_mov_b64 s[0:1], 0
.LBB21_1721:
	s_and_b64 vcc, exec, s[0:1]
	s_cbranch_vccz .LBB21_1770
; %bb.1722:
	v_mov_b32_e32 v1, 5
	v_cmp_lt_i16_sdwa s[0:1], s21, v1 src0_sel:BYTE_0 src1_sel:DWORD
	s_and_b64 vcc, exec, s[0:1]
	s_cbranch_vccnz .LBB21_1727
; %bb.1723:
	v_mov_b32_e32 v1, 8
	v_cmp_lt_i16_sdwa s[0:1], s21, v1 src0_sel:BYTE_0 src1_sel:DWORD
	s_and_b64 vcc, exec, s[0:1]
	s_cbranch_vccnz .LBB21_1728
	;; [unrolled: 5-line block ×3, first 2 shown]
; %bb.1725:
	v_cmp_gt_i16_sdwa s[0:1], s21, v1 src0_sel:BYTE_0 src1_sel:DWORD
	s_and_b64 vcc, exec, s[0:1]
	s_cbranch_vccz .LBB21_1730
; %bb.1726:
	global_load_dwordx2 v[16:17], v[12:13], off
	s_mov_b64 s[0:1], 0
	s_waitcnt vmcnt(0)
	v_cvt_f32_f64_e32 v1, v[16:17]
	s_branch .LBB21_1731
.LBB21_1727:
	s_mov_b64 s[0:1], -1
                                        ; implicit-def: $vgpr1
	s_branch .LBB21_1749
.LBB21_1728:
	s_mov_b64 s[0:1], -1
                                        ; implicit-def: $vgpr1
	s_branch .LBB21_1737
.LBB21_1729:
	s_mov_b64 s[0:1], -1
                                        ; implicit-def: $vgpr1
	s_branch .LBB21_1734
.LBB21_1730:
	s_mov_b64 s[0:1], -1
                                        ; implicit-def: $vgpr1
.LBB21_1731:
	s_andn2_b64 vcc, exec, s[0:1]
	s_cbranch_vccnz .LBB21_1733
; %bb.1732:
	global_load_dword v1, v[12:13], off
.LBB21_1733:
	s_mov_b64 s[0:1], 0
.LBB21_1734:
	s_andn2_b64 vcc, exec, s[0:1]
	s_cbranch_vccnz .LBB21_1736
; %bb.1735:
	global_load_dword v1, v[12:13], off
	s_waitcnt vmcnt(0)
	v_cvt_f32_f16_e32 v1, v1
.LBB21_1736:
	s_mov_b64 s[0:1], 0
.LBB21_1737:
	s_andn2_b64 vcc, exec, s[0:1]
	s_cbranch_vccnz .LBB21_1748
; %bb.1738:
	s_waitcnt vmcnt(0)
	v_mov_b32_e32 v1, 6
	v_cmp_lt_i16_sdwa s[0:1], s21, v1 src0_sel:BYTE_0 src1_sel:DWORD
	s_and_b64 vcc, exec, s[0:1]
	s_cbranch_vccnz .LBB21_1741
; %bb.1739:
	v_cmp_gt_i16_sdwa s[0:1], s21, v1 src0_sel:BYTE_0 src1_sel:DWORD
	s_and_b64 vcc, exec, s[0:1]
	s_cbranch_vccz .LBB21_1742
; %bb.1740:
	global_load_dwordx2 v[16:17], v[12:13], off
	s_mov_b64 s[0:1], 0
	s_waitcnt vmcnt(0)
	v_cvt_f32_f64_e32 v1, v[16:17]
	s_branch .LBB21_1743
.LBB21_1741:
	s_mov_b64 s[0:1], -1
                                        ; implicit-def: $vgpr1
	s_branch .LBB21_1746
.LBB21_1742:
	s_mov_b64 s[0:1], -1
                                        ; implicit-def: $vgpr1
.LBB21_1743:
	s_andn2_b64 vcc, exec, s[0:1]
	s_cbranch_vccnz .LBB21_1745
; %bb.1744:
	global_load_dword v1, v[12:13], off
.LBB21_1745:
	s_mov_b64 s[0:1], 0
.LBB21_1746:
	s_andn2_b64 vcc, exec, s[0:1]
	s_cbranch_vccnz .LBB21_1748
; %bb.1747:
	global_load_ushort v1, v[12:13], off
	s_waitcnt vmcnt(0)
	v_cvt_f32_f16_e32 v1, v1
.LBB21_1748:
	s_mov_b64 s[0:1], 0
.LBB21_1749:
	s_andn2_b64 vcc, exec, s[0:1]
	s_cbranch_vccnz .LBB21_1769
; %bb.1750:
	s_waitcnt vmcnt(0)
	v_mov_b32_e32 v1, 2
	v_cmp_lt_i16_sdwa s[0:1], s21, v1 src0_sel:BYTE_0 src1_sel:DWORD
	s_and_b64 vcc, exec, s[0:1]
	s_cbranch_vccnz .LBB21_1754
; %bb.1751:
	v_mov_b32_e32 v1, 3
	v_cmp_lt_i16_sdwa s[0:1], s21, v1 src0_sel:BYTE_0 src1_sel:DWORD
	s_and_b64 vcc, exec, s[0:1]
	s_cbranch_vccnz .LBB21_1755
; %bb.1752:
	v_cmp_gt_i16_sdwa s[0:1], s21, v1 src0_sel:BYTE_0 src1_sel:DWORD
	s_and_b64 vcc, exec, s[0:1]
	s_cbranch_vccz .LBB21_1756
; %bb.1753:
	global_load_dwordx2 v[16:17], v[12:13], off
	s_mov_b64 s[0:1], 0
	s_waitcnt vmcnt(0)
	v_xor_b32_e32 v3, v16, v17
	v_ffbh_i32_e32 v1, v17
	v_ashrrev_i32_e32 v3, 31, v3
	v_add_u32_e32 v1, -1, v1
	v_add_u32_e32 v3, 32, v3
	v_min_u32_e32 v1, v1, v3
	v_lshlrev_b64 v[16:17], v1, v[16:17]
	v_min_u32_e32 v3, 1, v16
	v_or_b32_e32 v3, v17, v3
	v_cvt_f32_i32_e32 v3, v3
	v_sub_u32_e32 v1, 32, v1
	v_ldexp_f32 v1, v3, v1
	s_branch .LBB21_1757
.LBB21_1754:
	s_mov_b64 s[0:1], -1
                                        ; implicit-def: $vgpr1
	s_branch .LBB21_1763
.LBB21_1755:
	s_mov_b64 s[0:1], -1
                                        ; implicit-def: $vgpr1
	s_branch .LBB21_1760
.LBB21_1756:
	s_mov_b64 s[0:1], -1
                                        ; implicit-def: $vgpr1
.LBB21_1757:
	s_andn2_b64 vcc, exec, s[0:1]
	s_cbranch_vccnz .LBB21_1759
; %bb.1758:
	global_load_dword v1, v[12:13], off
	s_waitcnt vmcnt(0)
	v_cvt_f32_i32_e32 v1, v1
.LBB21_1759:
	s_mov_b64 s[0:1], 0
.LBB21_1760:
	s_andn2_b64 vcc, exec, s[0:1]
	s_cbranch_vccnz .LBB21_1762
; %bb.1761:
	global_load_sshort v1, v[12:13], off
	s_waitcnt vmcnt(0)
	v_cvt_f32_i32_e32 v1, v1
.LBB21_1762:
	s_mov_b64 s[0:1], 0
.LBB21_1763:
	s_andn2_b64 vcc, exec, s[0:1]
	s_cbranch_vccnz .LBB21_1769
; %bb.1764:
	v_mov_b32_e32 v1, 0
	v_cmp_gt_i16_sdwa s[0:1], s21, v1 src0_sel:BYTE_0 src1_sel:DWORD
	s_and_b64 vcc, exec, s[0:1]
	s_cbranch_vccz .LBB21_1766
; %bb.1765:
	global_load_sbyte v1, v[12:13], off
	s_mov_b64 s[0:1], 0
	s_waitcnt vmcnt(0)
	v_cvt_f32_i32_e32 v1, v1
	s_branch .LBB21_1767
.LBB21_1766:
	s_mov_b64 s[0:1], -1
                                        ; implicit-def: $vgpr1
.LBB21_1767:
	s_andn2_b64 vcc, exec, s[0:1]
	s_cbranch_vccnz .LBB21_1769
; %bb.1768:
	global_load_ubyte v1, v[12:13], off
	s_waitcnt vmcnt(0)
	v_cvt_f32_ubyte0_e32 v1, v1
.LBB21_1769:
	s_mov_b64 s[4:5], -1
.LBB21_1770:
	s_andn2_b64 vcc, exec, s[4:5]
	s_cbranch_vccnz .LBB21_1780
; %bb.1771:
	s_waitcnt vmcnt(0)
	v_cmp_gt_f32_e32 vcc, 0, v1
	v_cndmask_b32_e64 v1, v1, -v1, vcc
	s_mov_b32 s0, 0x40a00000
	v_cmp_ge_f32_e32 vcc, s0, v1
                                        ; implicit-def: $vgpr12
	s_and_saveexec_b64 s[0:1], vcc
	s_xor_b64 s[0:1], exec, s[0:1]
	s_cbranch_execz .LBB21_1777
; %bb.1772:
	s_mov_b32 s2, 0x3727c5ac
	v_cmp_ngt_f32_e32 vcc, s2, v1
	v_mul_f32_e32 v16, v1, v1
                                        ; implicit-def: $vgpr12
	s_and_saveexec_b64 s[2:3], vcc
	s_xor_b64 s[2:3], exec, s[2:3]
	s_cbranch_execz .LBB21_1774
; %bb.1773:
	v_mov_b32_e32 v1, 0x43f9c815
	v_fmac_f32_e32 v1, 0, v16
	v_mov_b32_e32 v3, 0x4829b65a
	v_fmac_f32_e32 v3, v16, v1
	v_mov_b32_e32 v1, 0x4c38c9a1
	v_fmac_f32_e32 v1, v16, v3
	v_mov_b32_e32 v3, 0x5026ad80
	v_fmac_f32_e32 v3, v16, v1
	s_mov_b32 s4, 0xcf8ee29d
	v_mul_f32_e32 v12, 0, v16
	v_mul_f32_e32 v13, v16, v3
	s_mov_b32 s5, 0x53f5f59c
	v_pk_add_f32 v[12:13], v[12:13], s[4:5]
	s_mov_b32 s4, 0x53e3ba8e
	s_mov_b32 s5, 0x578d3514
	v_pk_fma_f32 v[12:13], v[16:17], v[12:13], s[4:5] op_sel_hi:[0,1,1]
	s_mov_b32 s4, 0xd762b0a7
	s_mov_b32 s5, 0x5ae20a0c
	v_pk_fma_f32 v[12:13], v[16:17], v[12:13], s[4:5] op_sel_hi:[0,1,1]
	;; [unrolled: 3-line block ×3, first 2 shown]
	s_mov_b32 s4, 0xc0b90fdc
	s_mov_b32 s5, 0xc1f3c525
	v_pk_add_f32 v[16:17], v[16:17], s[4:5] op_sel_hi:[0,1]
	v_mul_f32_e32 v1, v16, v17
	v_mul_f32_e32 v1, v1, v12
	v_div_scale_f32 v3, s[4:5], v13, v13, v1
	v_rcp_f32_e32 v5, v3
                                        ; implicit-def: $vgpr16
	v_fma_f32 v7, -v3, v5, 1.0
	v_fmac_f32_e32 v5, v7, v5
	v_div_scale_f32 v7, vcc, v1, v13, v1
	v_mul_f32_e32 v9, v7, v5
	v_fma_f32 v11, -v3, v9, v7
	v_fmac_f32_e32 v9, v11, v5
	v_fma_f32 v3, -v3, v9, v7
	v_div_fmas_f32 v3, v3, v5, v9
	v_div_fixup_f32 v12, v3, v13, v1
.LBB21_1774:
	s_andn2_saveexec_b64 s[2:3], s[2:3]
; %bb.1775:
	s_mov_b32 s4, 0xbe800000
	v_fma_f32 v12, v16, s4, 1.0
; %bb.1776:
	s_or_b64 exec, exec, s[2:3]
                                        ; implicit-def: $vgpr1
.LBB21_1777:
	s_andn2_saveexec_b64 s[10:11], s[0:1]
	s_cbranch_execz .LBB21_1833
; %bb.1778:
	v_add_f32_e32 v3, 0xbf490fdb, v1
	s_brev_b32 s0, 18
	v_and_b32_e32 v5, 0x7fffffff, v3
	v_cmp_nlt_f32_e64 s[14:15], |v3|, s0
                                        ; implicit-def: $vgpr7
                                        ; implicit-def: $vgpr9
	s_and_saveexec_b64 s[0:1], s[14:15]
	s_xor_b64 s[16:17], exec, s[0:1]
	s_cbranch_execz .LBB21_1826
; %bb.1779:
	v_lshrrev_b32_e32 v7, 23, v5
	v_add_u32_e32 v7, 0xffffff88, v7
	v_not_b32_e32 v9, 63
	v_cmp_lt_u32_e32 vcc, 63, v7
	v_cndmask_b32_e32 v9, 0, v9, vcc
	v_add_u32_e32 v7, v9, v7
	v_not_b32_e32 v9, 31
	v_cmp_lt_u32_e64 s[0:1], 31, v7
	v_cndmask_b32_e64 v11, 0, v9, s[0:1]
	v_add_u32_e32 v7, v11, v7
	v_cmp_lt_u32_e64 s[2:3], 31, v7
	v_cndmask_b32_e64 v9, 0, v9, s[2:3]
	v_add_u32_e32 v7, v9, v7
	v_and_b32_e32 v9, 0x7fffff, v5
	v_or_b32_e32 v9, 0x800000, v9
	s_mov_b32 s4, 0xfe5163ab
	v_mad_u64_u32 v[16:17], s[4:5], v9, s4, 0
	v_mov_b32_e32 v13, 0
	v_mov_b32_e32 v12, v17
	s_mov_b32 s4, 0x3c439041
	v_mad_u64_u32 v[18:19], s[4:5], v9, s4, v[12:13]
	v_mov_b32_e32 v12, v19
	s_mov_b32 s4, 0xdb629599
	v_mad_u64_u32 v[20:21], s[4:5], v9, s4, v[12:13]
	;; [unrolled: 3-line block ×6, first 2 shown]
	v_cndmask_b32_e32 v11, v26, v22, vcc
	v_cndmask_b32_e32 v9, v12, v24, vcc
	;; [unrolled: 1-line block ×3, first 2 shown]
	v_cndmask_b32_e64 v12, v9, v11, s[0:1]
	v_cndmask_b32_e64 v9, v13, v9, s[0:1]
	v_cndmask_b32_e32 v13, v24, v20, vcc
	v_cndmask_b32_e64 v11, v11, v13, s[0:1]
	v_cndmask_b32_e64 v9, v9, v12, s[2:3]
	;; [unrolled: 1-line block ×3, first 2 shown]
	v_sub_u32_e32 v15, 32, v7
	v_alignbit_b32 v17, v9, v12, v15
	v_cmp_eq_u32_e64 s[4:5], 0, v7
	v_cndmask_b32_e64 v7, v17, v9, s[4:5]
	v_cndmask_b32_e32 v9, v22, v18, vcc
	v_cndmask_b32_e64 v13, v13, v9, s[0:1]
	v_cndmask_b32_e64 v11, v11, v13, s[2:3]
	v_alignbit_b32 v17, v12, v11, v15
	v_cndmask_b32_e32 v16, v20, v16, vcc
	v_cndmask_b32_e64 v12, v17, v12, s[4:5]
	v_bfe_u32 v19, v7, 29, 1
	v_cndmask_b32_e64 v9, v9, v16, s[0:1]
	v_alignbit_b32 v17, v7, v12, 30
	v_sub_u32_e32 v21, 0, v19
	v_cndmask_b32_e64 v9, v13, v9, s[2:3]
	v_xor_b32_e32 v22, v17, v21
	v_alignbit_b32 v13, v11, v9, v15
	v_cndmask_b32_e64 v11, v13, v11, s[4:5]
	v_ffbh_u32_e32 v13, v22
	v_add_u32_e32 v13, 1, v13
	v_cmp_ne_u32_e32 vcc, v17, v21
	v_alignbit_b32 v12, v12, v11, 30
	v_cndmask_b32_e32 v13, 33, v13, vcc
	v_alignbit_b32 v9, v11, v9, 30
	v_xor_b32_e32 v12, v12, v21
	v_sub_u32_e32 v15, 32, v13
	v_xor_b32_e32 v9, v9, v21
	v_alignbit_b32 v16, v22, v12, v15
	v_alignbit_b32 v9, v12, v9, v15
	;; [unrolled: 1-line block ×3, first 2 shown]
	v_ffbh_u32_e32 v12, v11
	v_min_u32_e32 v12, 32, v12
	v_lshrrev_b32_e32 v18, 29, v7
	v_sub_u32_e32 v15, 31, v12
	v_alignbit_b32 v9, v11, v9, v15
	v_lshlrev_b32_e32 v11, 31, v18
	v_or_b32_e32 v15, 0x33800000, v11
	v_add_lshl_u32 v12, v12, v13, 23
	v_lshrrev_b32_e32 v9, 9, v9
	v_sub_u32_e32 v12, v15, v12
	v_or_b32_e32 v9, v12, v9
	v_alignbit_b32 v12, v13, v16, 9
	v_or_b32_e32 v11, v12, v11
	v_xor_b32_e32 v11, 1.0, v11
	s_mov_b32 s0, 0x3fc90fda
	v_mul_f32_e32 v12, 0x3fc90fda, v11
	v_fma_f32 v13, v11, s0, -v12
	v_fmac_f32_e32 v13, 0x33a22168, v11
	v_fmac_f32_e32 v13, 0x3fc90fda, v9
	v_lshrrev_b32_e32 v7, 30, v7
	v_add_f32_e32 v9, v12, v13
	v_add_u32_e32 v7, v19, v7
	s_andn2_saveexec_b64 s[0:1], s[16:17]
	s_branch .LBB21_1827
.LBB21_1780:
	s_mov_b64 s[0:1], 0
                                        ; implicit-def: $vgpr0_vgpr1
                                        ; implicit-def: $vgpr2
                                        ; implicit-def: $vgpr12
.LBB21_1781:
	s_mov_b64 s[2:3], 0
.LBB21_1782:
	s_and_b64 s[40:41], s[2:3], exec
	s_andn2_b64 s[2:3], s[6:7], exec
	s_and_b64 s[4:5], s[12:13], exec
	s_and_b64 s[0:1], s[0:1], exec
	s_or_b64 s[6:7], s[2:3], s[4:5]
.LBB21_1783:
	s_or_b64 exec, exec, s[28:29]
	s_and_saveexec_b64 s[2:3], s[6:7]
	s_cbranch_execz .LBB21_1786
; %bb.1784:
	; divergent unreachable
	s_or_b64 exec, exec, s[2:3]
	s_and_saveexec_b64 s[2:3], s[40:41]
	s_xor_b64 s[2:3], exec, s[2:3]
	s_cbranch_execnz .LBB21_1787
.LBB21_1785:
	s_or_b64 exec, exec, s[2:3]
	s_and_saveexec_b64 s[2:3], s[0:1]
	s_cbranch_execnz .LBB21_1788
	s_branch .LBB21_1825
.LBB21_1786:
	s_or_b64 exec, exec, s[2:3]
	s_and_saveexec_b64 s[2:3], s[40:41]
	s_xor_b64 s[2:3], exec, s[2:3]
	s_cbranch_execz .LBB21_1785
.LBB21_1787:
	v_cmp_neq_f32_e32 vcc, 0, v12
	v_cndmask_b32_e64 v3, 0, 1, vcc
	s_waitcnt vmcnt(0)
	global_store_byte v[0:1], v3, off
	s_or_b64 exec, exec, s[2:3]
	s_and_saveexec_b64 s[2:3], s[0:1]
	s_cbranch_execz .LBB21_1825
.LBB21_1788:
	v_cmp_gt_i16_e32 vcc, 5, v2
	s_mov_b64 s[0:1], -1
	s_cbranch_vccnz .LBB21_1809
; %bb.1789:
	v_cmp_gt_i16_e32 vcc, 8, v2
	s_cbranch_vccnz .LBB21_1799
; %bb.1790:
	v_cmp_gt_i16_e32 vcc, 9, v2
	s_cbranch_vccnz .LBB21_1796
; %bb.1791:
	v_cmp_lt_i16_e32 vcc, 9, v2
	s_cbranch_vccz .LBB21_1793
; %bb.1792:
	v_mov_b32_e32 v6, 0
	v_cvt_f64_f32_e32 v[4:5], v12
	s_waitcnt vmcnt(0)
	v_mov_b32_e32 v7, v6
	global_store_dwordx4 v[0:1], v[4:7], off
	s_mov_b64 s[0:1], 0
.LBB21_1793:
	s_andn2_b64 vcc, exec, s[0:1]
	s_cbranch_vccnz .LBB21_1795
; %bb.1794:
	v_mov_b32_e32 v13, 0
	s_waitcnt vmcnt(0)
	global_store_dwordx2 v[0:1], v[12:13], off
.LBB21_1795:
	s_mov_b64 s[0:1], 0
.LBB21_1796:
	s_andn2_b64 vcc, exec, s[0:1]
	s_cbranch_vccnz .LBB21_1798
; %bb.1797:
	v_cvt_f16_f32_e32 v3, v12
	s_waitcnt vmcnt(0)
	global_store_dword v[0:1], v3, off
.LBB21_1798:
	s_mov_b64 s[0:1], 0
.LBB21_1799:
	s_andn2_b64 vcc, exec, s[0:1]
	s_cbranch_vccnz .LBB21_1808
; %bb.1800:
	v_cmp_gt_i16_e32 vcc, 6, v2
	s_mov_b64 s[0:1], -1
	s_cbranch_vccnz .LBB21_1806
; %bb.1801:
	v_cmp_lt_i16_e32 vcc, 6, v2
	s_cbranch_vccz .LBB21_1803
; %bb.1802:
	v_cvt_f64_f32_e32 v[4:5], v12
	s_waitcnt vmcnt(0)
	global_store_dwordx2 v[0:1], v[4:5], off
	s_mov_b64 s[0:1], 0
.LBB21_1803:
	s_andn2_b64 vcc, exec, s[0:1]
	s_cbranch_vccnz .LBB21_1805
; %bb.1804:
	s_waitcnt vmcnt(0)
	global_store_dword v[0:1], v12, off
.LBB21_1805:
	s_mov_b64 s[0:1], 0
.LBB21_1806:
	s_andn2_b64 vcc, exec, s[0:1]
	s_cbranch_vccnz .LBB21_1808
; %bb.1807:
	v_cvt_f16_f32_e32 v3, v12
	s_waitcnt vmcnt(0)
	global_store_short v[0:1], v3, off
.LBB21_1808:
	s_mov_b64 s[0:1], 0
.LBB21_1809:
	s_andn2_b64 vcc, exec, s[0:1]
	s_cbranch_vccnz .LBB21_1825
; %bb.1810:
	v_cmp_gt_i16_e32 vcc, 2, v2
	s_mov_b64 s[0:1], -1
	s_cbranch_vccnz .LBB21_1820
; %bb.1811:
	v_cmp_gt_i16_e32 vcc, 3, v2
	s_cbranch_vccnz .LBB21_1817
; %bb.1812:
	v_cmp_lt_i16_e32 vcc, 3, v2
	s_cbranch_vccz .LBB21_1814
; %bb.1813:
	v_trunc_f32_e32 v3, v12
	s_mov_b32 s0, 0x2f800000
	v_mul_f32_e64 v4, |v3|, s0
	v_floor_f32_e32 v4, v4
	s_mov_b32 s0, 0xcf800000
	v_cvt_u32_f32_e32 v5, v4
	v_fma_f32 v4, v4, s0, |v3|
	v_cvt_u32_f32_e32 v4, v4
	v_ashrrev_i32_e32 v3, 31, v3
	v_xor_b32_e32 v5, v5, v3
	s_mov_b64 s[0:1], 0
	v_xor_b32_e32 v4, v4, v3
	v_sub_co_u32_e32 v4, vcc, v4, v3
	v_subb_co_u32_e32 v5, vcc, v5, v3, vcc
	s_waitcnt vmcnt(0)
	global_store_dwordx2 v[0:1], v[4:5], off
.LBB21_1814:
	s_andn2_b64 vcc, exec, s[0:1]
	s_cbranch_vccnz .LBB21_1816
; %bb.1815:
	v_cvt_i32_f32_e32 v3, v12
	s_waitcnt vmcnt(0)
	global_store_dword v[0:1], v3, off
.LBB21_1816:
	s_mov_b64 s[0:1], 0
.LBB21_1817:
	s_andn2_b64 vcc, exec, s[0:1]
	s_cbranch_vccnz .LBB21_1819
; %bb.1818:
	v_cvt_i32_f32_e32 v3, v12
	s_waitcnt vmcnt(0)
	global_store_short v[0:1], v3, off
.LBB21_1819:
	s_mov_b64 s[0:1], 0
.LBB21_1820:
	s_andn2_b64 vcc, exec, s[0:1]
	s_cbranch_vccnz .LBB21_1825
; %bb.1821:
	v_cmp_lt_i16_e32 vcc, 0, v2
	s_mov_b64 s[0:1], -1
	s_cbranch_vccz .LBB21_1823
; %bb.1822:
	v_cvt_i32_f32_e32 v2, v12
	s_mov_b64 s[0:1], 0
	s_waitcnt vmcnt(0)
	global_store_byte v[0:1], v2, off
.LBB21_1823:
	s_andn2_b64 vcc, exec, s[0:1]
	s_cbranch_vccnz .LBB21_1825
; %bb.1824:
	v_trunc_f32_e32 v2, v12
	s_mov_b32 s0, 0x2f800000
	v_mul_f32_e64 v3, |v2|, s0
	v_floor_f32_e32 v3, v3
	s_mov_b32 s0, 0xcf800000
	v_fma_f32 v3, v3, s0, |v2|
	v_cvt_u32_f32_e32 v3, v3
	v_ashrrev_i32_e32 v2, 31, v2
	v_xor_b32_e32 v3, v3, v2
	v_sub_u32_e32 v2, v3, v2
	s_waitcnt vmcnt(0)
	global_store_byte v[0:1], v2, off
	s_endpgm
.LBB21_1825:
	s_endpgm
.LBB21_1826:
	s_andn2_saveexec_b64 s[0:1], s[16:17]
.LBB21_1827:
	s_mov_b32 s2, 0x3f22f983
	v_mul_f32_e64 v7, |v3|, s2
	v_rndne_f32_e32 v11, v7
	s_mov_b32 s2, 0xbfc90fda
	v_cvt_i32_f32_e32 v7, v11
	v_fma_f32 v9, v11, s2, |v3|
	v_fmac_f32_e32 v9, 0xb3a22168, v11
	v_fmac_f32_e32 v9, 0xa7c234c4, v11
; %bb.1828:
	s_or_b64 exec, exec, s[0:1]
                                        ; implicit-def: $vgpr11
                                        ; implicit-def: $vgpr12
	s_and_saveexec_b64 s[0:1], s[14:15]
	s_xor_b64 s[14:15], exec, s[0:1]
	s_cbranch_execz .LBB21_1830
; %bb.1829:
	v_lshrrev_b32_e32 v11, 23, v5
	v_add_u32_e32 v11, 0xffffff88, v11
	v_not_b32_e32 v12, 63
	v_cmp_lt_u32_e32 vcc, 63, v11
	v_cndmask_b32_e32 v12, 0, v12, vcc
	v_add_u32_e32 v11, v12, v11
	v_not_b32_e32 v12, 31
	v_cmp_lt_u32_e64 s[0:1], 31, v11
	v_cndmask_b32_e64 v15, 0, v12, s[0:1]
	v_add_u32_e32 v11, v15, v11
	v_cmp_lt_u32_e64 s[2:3], 31, v11
	v_cndmask_b32_e64 v12, 0, v12, s[2:3]
	v_add_u32_e32 v11, v12, v11
	v_and_b32_e32 v12, 0x7fffff, v5
	v_or_b32_e32 v15, 0x800000, v12
	s_mov_b32 s4, 0xfe5163ab
	v_mad_u64_u32 v[16:17], s[4:5], v15, s4, 0
	v_mov_b32_e32 v13, 0
	v_mov_b32_e32 v12, v17
	s_mov_b32 s4, 0x3c439041
	v_mad_u64_u32 v[18:19], s[4:5], v15, s4, v[12:13]
	v_mov_b32_e32 v12, v19
	s_mov_b32 s4, 0xdb629599
	v_mad_u64_u32 v[20:21], s[4:5], v15, s4, v[12:13]
	;; [unrolled: 3-line block ×6, first 2 shown]
	v_cndmask_b32_e32 v17, v26, v22, vcc
	v_cndmask_b32_e32 v12, v12, v24, vcc
	;; [unrolled: 1-line block ×3, first 2 shown]
	v_cndmask_b32_e64 v15, v12, v17, s[0:1]
	v_cndmask_b32_e64 v12, v13, v12, s[0:1]
	v_cndmask_b32_e32 v13, v24, v20, vcc
	v_cndmask_b32_e64 v17, v17, v13, s[0:1]
	v_cndmask_b32_e64 v12, v12, v15, s[2:3]
	;; [unrolled: 1-line block ×3, first 2 shown]
	v_sub_u32_e32 v19, 32, v11
	v_alignbit_b32 v21, v12, v15, v19
	v_cmp_eq_u32_e64 s[4:5], 0, v11
	v_cndmask_b32_e64 v11, v21, v12, s[4:5]
	v_cndmask_b32_e32 v12, v22, v18, vcc
	v_cndmask_b32_e64 v13, v13, v12, s[0:1]
	v_cndmask_b32_e64 v17, v17, v13, s[2:3]
	v_alignbit_b32 v18, v15, v17, v19
	v_cndmask_b32_e64 v15, v18, v15, s[4:5]
	v_bfe_u32 v22, v11, 29, 1
	v_cndmask_b32_e32 v16, v20, v16, vcc
	v_alignbit_b32 v18, v11, v15, 30
	v_sub_u32_e32 v23, 0, v22
	v_cndmask_b32_e64 v12, v12, v16, s[0:1]
	v_xor_b32_e32 v24, v18, v23
	v_cndmask_b32_e64 v12, v13, v12, s[2:3]
	v_alignbit_b32 v13, v17, v12, v19
	v_ffbh_u32_e32 v16, v24
	v_cndmask_b32_e64 v13, v13, v17, s[4:5]
	v_add_u32_e32 v16, 1, v16
	v_cmp_ne_u32_e32 vcc, v18, v23
	v_alignbit_b32 v15, v15, v13, 30
	v_cndmask_b32_e32 v16, 33, v16, vcc
	v_alignbit_b32 v12, v13, v12, 30
	v_xor_b32_e32 v15, v15, v23
	v_sub_u32_e32 v17, 32, v16
	v_xor_b32_e32 v12, v12, v23
	v_alignbit_b32 v18, v24, v15, v17
	v_alignbit_b32 v12, v15, v12, v17
	;; [unrolled: 1-line block ×3, first 2 shown]
	v_ffbh_u32_e32 v15, v13
	v_min_u32_e32 v15, 32, v15
	v_lshrrev_b32_e32 v21, 29, v11
	v_sub_u32_e32 v17, 31, v15
	v_alignbit_b32 v12, v13, v12, v17
	v_lshlrev_b32_e32 v13, 31, v21
	v_or_b32_e32 v17, 0x33800000, v13
	v_add_lshl_u32 v15, v15, v16, 23
	v_lshrrev_b32_e32 v12, 9, v12
	v_sub_u32_e32 v15, v17, v15
	v_or_b32_e32 v12, v15, v12
	v_alignbit_b32 v15, v16, v18, 9
	v_or_b32_e32 v13, v15, v13
	v_xor_b32_e32 v13, 1.0, v13
	s_mov_b32 s0, 0x3fc90fda
	v_mul_f32_e32 v15, 0x3fc90fda, v13
	v_fma_f32 v16, v13, s0, -v15
	v_fmac_f32_e32 v16, 0x33a22168, v13
	v_fmac_f32_e32 v16, 0x3fc90fda, v12
	v_lshrrev_b32_e32 v11, 30, v11
	v_add_f32_e32 v12, v15, v16
	v_add_u32_e32 v11, v22, v11
	s_andn2_saveexec_b64 s[0:1], s[14:15]
	s_cbranch_execnz .LBB21_1831
	s_branch .LBB21_1832
.LBB21_1830:
	s_andn2_saveexec_b64 s[0:1], s[14:15]
.LBB21_1831:
	s_mov_b32 s2, 0x3f22f983
	v_mul_f32_e64 v11, |v3|, s2
	v_rndne_f32_e32 v13, v11
	s_mov_b32 s2, 0xbfc90fda
	v_cvt_i32_f32_e32 v11, v13
	v_fma_f32 v12, v13, s2, |v3|
	v_fmac_f32_e32 v12, 0xb3a22168, v13
	v_fmac_f32_e32 v12, 0xa7c234c4, v13
.LBB21_1832:
	s_or_b64 exec, exec, s[0:1]
	v_mul_f32_e32 v13, v1, v1
	s_mov_b32 s2, 0x41c80000
	v_div_scale_f32 v15, s[0:1], v13, v13, s2
	v_rcp_f32_e32 v16, v15
	v_mov_b32_e32 v23, 0xbf000004
	s_mov_b32 s4, 0xc0a00000
	v_fma_f32 v17, -v15, v16, 1.0
	v_fmac_f32_e32 v16, v17, v16
	v_div_scale_f32 v17, vcc, s2, v13, s2
	v_mul_f32_e32 v18, v17, v16
	v_fma_f32 v19, -v15, v18, v17
	v_fmac_f32_e32 v18, v19, v16
	v_fma_f32 v15, -v15, v18, v17
	v_div_fmas_f32 v15, v15, v16, v18
	v_div_fixup_f32 v13, v15, v13, s2
	v_mov_b32_e32 v15, 0x3a50e985
	v_fmac_f32_e32 v15, 0, v13
	v_mov_b32_e32 v16, 0x3da9a586
	v_fmac_f32_e32 v16, v13, v15
	;; [unrolled: 2-line block ×12, first 2 shown]
	v_fma_f32 v15, v13, v17, 1.0
	v_mov_b32_e32 v17, 0xbc3a3a12
	v_fmac_f32_e32 v17, 0, v13
	v_mov_b32_e32 v18, 0xbfa429da
	v_fmac_f32_e32 v18, v13, v17
	;; [unrolled: 2-line block ×9, first 2 shown]
	v_mov_b32_e32 v19, 0x44561b86
	v_fma_f32 v16, v13, v16, 1.0
	v_fmac_f32_e32 v19, v13, v17
	v_mov_b32_e32 v17, 0x4572a66e
	v_div_scale_f32 v20, s[0:1], v15, v15, v16
	v_fmac_f32_e32 v17, v13, v19
	v_mov_b32_e32 v19, 0x45e243be
	v_rcp_f32_e32 v21, v20
	v_fmac_f32_e32 v19, v13, v17
	v_mov_b32_e32 v17, 0x45b955d1
	v_fmac_f32_e32 v17, v13, v19
	v_mov_b32_e32 v19, 0x4500e17e
	v_fmac_f32_e32 v19, v13, v17
	v_mov_b32_e32 v17, 0x43720178
	v_fmac_f32_e32 v17, v13, v19
	v_fma_f32 v13, -v20, v21, 1.0
	v_fmac_f32_e32 v21, v13, v21
	v_div_scale_f32 v13, vcc, v16, v15, v16
	v_mul_f32_e32 v19, v13, v21
	v_fma_f32 v22, -v20, v19, v13
	v_fmac_f32_e32 v19, v22, v21
	v_fma_f32 v13, -v20, v19, v13
	v_div_fmas_f32 v13, v13, v21, v19
	v_div_fixup_f32 v13, v13, v15, v16
	v_mul_f32_e32 v15, v9, v9
	v_mov_b32_e32 v21, 0xbab64f3b
	v_mov_b32_e32 v19, 0x3c0881c4
	v_fmac_f32_e32 v21, 0x37d75334, v15
	v_mov_b32_e32 v22, 0x3d2aabf7
	v_fmac_f32_e32 v19, 0xb94c1982, v15
	v_mov_b32_e32 v20, 0xbe2aaa9d
	v_fma_f32 v21, v15, v21, v22
	v_fma_f32 v19, v15, v19, v20
	;; [unrolled: 1-line block ×3, first 2 shown]
	v_mul_f32_e32 v19, v15, v19
	v_fma_f32 v15, v15, v21, 1.0
	v_and_b32_e32 v21, 1, v7
	v_fmac_f32_e32 v9, v9, v19
	v_cmp_eq_u32_e32 vcc, 0, v21
	v_lshlrev_b32_e32 v7, 30, v7
	v_cndmask_b32_e64 v9, -v9, v15, vcc
	v_and_b32_e32 v7, 0x80000000, v7
	v_xor_b32_e32 v7, v7, v9
	v_div_scale_f32 v9, s[0:1], v1, v1, s4
	v_rcp_f32_e32 v15, v9
	s_movk_i32 s2, 0x1f8
	v_cmp_class_f32_e64 s[0:1], v3, s2
	v_mov_b32_e32 v16, 0x3c0881c4
	v_fma_f32 v24, -v9, v15, 1.0
	v_fmac_f32_e32 v15, v24, v15
	v_div_scale_f32 v24, vcc, s4, v1, s4
	v_mul_f32_e32 v25, v24, v15
	v_fma_f32 v26, -v9, v25, v24
	v_fmac_f32_e32 v25, v26, v15
	v_fma_f32 v9, -v9, v25, v24
	v_div_scale_f32 v24, s[2:3], v17, v17, v18
	v_rcp_f32_e32 v26, v24
	v_div_fmas_f32 v9, v9, v15, v25
	v_div_fixup_f32 v9, v9, v1, s4
	v_mov_b32_e32 v19, 0xbab64f3b
	v_fma_f32 v15, -v24, v26, 1.0
	v_fmac_f32_e32 v26, v15, v26
	v_div_scale_f32 v15, vcc, v18, v17, v18
	v_mul_f32_e32 v25, v15, v26
	v_fma_f32 v27, -v24, v25, v15
	v_fmac_f32_e32 v25, v27, v26
	v_fma_f32 v15, -v24, v25, v15
	v_div_fmas_f32 v15, v15, v26, v25
	v_div_fixup_f32 v15, v15, v17, v18
	v_mul_f32_e32 v9, v9, v15
	v_mul_f32_e32 v15, v12, v12
	v_fmac_f32_e32 v16, 0xb94c1982, v15
	v_fmac_f32_e32 v20, v15, v16
	;; [unrolled: 1-line block ×3, first 2 shown]
	v_mul_f32_e32 v16, v15, v20
	v_fmac_f32_e32 v22, v15, v19
	v_fmac_f32_e32 v12, v12, v16
	;; [unrolled: 1-line block ×3, first 2 shown]
	v_and_b32_e32 v16, 1, v11
	v_lshlrev_b32_e32 v11, 30, v11
	v_fma_f32 v15, v15, v23, 1.0
	v_cmp_eq_u32_e32 vcc, 0, v16
	v_and_b32_e32 v11, 0x80000000, v11
	v_xor_b32_e32 v3, v5, v3
	v_cndmask_b32_e32 v12, v15, v12, vcc
	v_xor_b32_e32 v3, v3, v11
	v_mov_b32_e32 v21, 0x7fc00000
	v_xor_b32_e32 v3, v3, v12
	v_cndmask_b32_e64 v7, v21, v7, s[0:1]
	v_cndmask_b32_e64 v3, v21, v3, s[0:1]
	s_mov_b32 s0, 0xf800000
	v_mul_f32_e32 v5, 0x4f800000, v1
	v_cmp_gt_f32_e32 vcc, s0, v1
	v_cndmask_b32_e32 v1, v1, v5, vcc
	v_sqrt_f32_e32 v5, v1
	v_mul_f32_e32 v3, v9, v3
	v_fmac_f32_e32 v3, v13, v7
	v_mul_f32_e32 v3, 0x3f4c422a, v3
	v_add_u32_e32 v7, -1, v5
	v_fma_f32 v9, -v7, v5, v1
	v_cmp_ge_f32_e64 s[0:1], 0, v9
	v_add_u32_e32 v9, 1, v5
	v_cndmask_b32_e64 v7, v5, v7, s[0:1]
	v_fma_f32 v5, -v9, v5, v1
	v_cmp_lt_f32_e64 s[0:1], 0, v5
	v_cndmask_b32_e64 v5, v7, v9, s[0:1]
	v_mul_f32_e32 v7, 0x37800000, v5
	v_cndmask_b32_e32 v5, v5, v7, vcc
	v_mov_b32_e32 v7, 0x260
	v_cmp_class_f32_e32 vcc, v1, v7
	v_cndmask_b32_e32 v1, v5, v1, vcc
	v_div_scale_f32 v5, s[0:1], v1, v1, v3
	v_rcp_f32_e32 v7, v5
	v_fma_f32 v9, -v5, v7, 1.0
	v_fmac_f32_e32 v7, v9, v7
	v_div_scale_f32 v9, vcc, v3, v1, v3
	v_mul_f32_e32 v11, v9, v7
	v_fma_f32 v12, -v5, v11, v9
	v_fmac_f32_e32 v11, v12, v7
	v_fma_f32 v5, -v5, v11, v9
	v_div_fmas_f32 v5, v5, v7, v11
	v_div_fixup_f32 v12, v5, v1, v3
.LBB21_1833:
	s_or_b64 exec, exec, s[10:11]
	v_mov_b32_e32 v1, s9
	v_add_co_u32_e32 v6, vcc, s8, v6
	s_lshr_b32 s16, s20, 8
	v_addc_co_u32_e32 v7, vcc, 0, v1, vcc
	v_mov_b32_e32 v1, 11
	v_cmp_lt_i16_sdwa s[0:1], s16, v1 src0_sel:BYTE_0 src1_sel:DWORD
	s_and_b64 vcc, exec, s[0:1]
	s_cbranch_vccnz .LBB21_1840
; %bb.1834:
	v_mov_b32_e32 v1, 25
	v_cmp_gt_i16_sdwa s[0:1], s16, v1 src0_sel:BYTE_0 src1_sel:DWORD
	s_mov_b64 s[10:11], -1
	s_mov_b64 s[2:3], 0
	s_and_b64 vcc, exec, s[0:1]
	s_mov_b64 s[4:5], 0
	s_mov_b64 s[0:1], 0
	s_cbranch_vccz .LBB21_1872
; %bb.1835:
	v_mov_b32_e32 v1, 28
	v_cmp_gt_i16_sdwa s[0:1], s16, v1 src0_sel:BYTE_0 src1_sel:DWORD
	s_and_b64 vcc, exec, s[0:1]
	s_cbranch_vccz .LBB21_1841
; %bb.1836:
	v_mov_b32_e32 v1, 43
	v_cmp_gt_i16_sdwa s[0:1], s16, v1 src0_sel:BYTE_0 src1_sel:DWORD
	s_and_b64 vcc, exec, s[0:1]
	;; [unrolled: 5-line block ×3, first 2 shown]
	s_cbranch_vccz .LBB21_1844
; %bb.1838:
	v_mov_b32_e32 v1, 46
	v_cmp_eq_u16_sdwa s[4:5], s16, v1 src0_sel:BYTE_0 src1_sel:DWORD
	s_mov_b64 s[0:1], -1
	s_mov_b64 s[10:11], 0
	s_and_b64 vcc, exec, s[4:5]
	s_mov_b64 s[4:5], 0
	s_cbranch_vccz .LBB21_1845
; %bb.1839:
	v_bfe_u32 v1, v8, 16, 1
	s_movk_i32 s0, 0x7fff
	v_add3_u32 v1, v8, v1, s0
	v_lshrrev_b32_e32 v1, 16, v1
	v_mov_b32_e32 v3, 0x7fc0
	v_cmp_o_f32_e32 vcc, v8, v8
	v_cndmask_b32_e32 v1, v3, v1, vcc
	global_store_dword v[6:7], v1, off
	s_mov_b64 s[0:1], 0
	s_mov_b64 s[4:5], -1
	s_branch .LBB21_1845
.LBB21_1840:
	s_mov_b64 s[0:1], -1
	s_mov_b64 s[4:5], 0
	s_branch .LBB21_1916
.LBB21_1841:
	s_mov_b64 s[0:1], 0
	s_branch .LBB21_1855
.LBB21_1842:
	s_mov_b64 s[0:1], 0
	s_branch .LBB21_1851
.LBB21_1843:
	s_trap 2
	s_or_b64 s[12:13], s[12:13], exec
                                        ; implicit-def: $vgpr1
	s_cbranch_execz .LBB21_1719
	s_branch .LBB21_1720
.LBB21_1844:
	s_mov_b64 s[0:1], 0
.LBB21_1845:
	s_and_b64 vcc, exec, s[10:11]
	s_cbranch_vccz .LBB21_1850
; %bb.1846:
	v_mov_b32_e32 v1, 44
	v_cmp_eq_u16_sdwa s[10:11], s16, v1 src0_sel:BYTE_0 src1_sel:DWORD
	s_mov_b64 s[0:1], -1
	s_and_b64 vcc, exec, s[10:11]
	s_cbranch_vccz .LBB21_1850
; %bb.1847:
	v_bfe_u32 v1, v8, 23, 8
	s_movk_i32 s0, 0xff
	v_cmp_ne_u32_e32 vcc, s0, v1
	v_mov_b32_e32 v3, 0xff
	s_and_saveexec_b64 s[4:5], vcc
; %bb.1848:
	s_mov_b32 s0, 0x3fffff
	v_and_b32_e32 v5, 0x400000, v8
	v_and_or_b32 v1, v8, s0, v1
	v_cmp_ne_u32_e32 vcc, 0, v5
	v_cmp_ne_u32_e64 s[0:1], 0, v1
	s_and_b64 s[0:1], vcc, s[0:1]
	v_lshrrev_b32_e32 v3, 23, v8
	v_cndmask_b32_e64 v1, 0, 1, s[0:1]
	v_add_u32_e32 v3, v3, v1
; %bb.1849:
	s_or_b64 exec, exec, s[4:5]
	s_mov_b64 s[0:1], 0
	s_mov_b64 s[4:5], -1
	global_store_byte v[6:7], v3, off
.LBB21_1850:
	s_mov_b64 s[10:11], 0
.LBB21_1851:
	s_and_b64 vcc, exec, s[10:11]
	s_cbranch_vccz .LBB21_1854
; %bb.1852:
	v_mov_b32_e32 v1, 29
	v_cmp_eq_u16_sdwa s[10:11], s16, v1 src0_sel:BYTE_0 src1_sel:DWORD
	s_mov_b64 s[0:1], -1
	s_and_b64 vcc, exec, s[10:11]
	s_cbranch_vccz .LBB21_1854
; %bb.1853:
	v_trunc_f32_e32 v1, v8
	v_mul_f32_e32 v3, 0x2f800000, v1
	v_floor_f32_e32 v3, v3
	v_fmac_f32_e32 v1, 0xcf800000, v3
	v_cvt_u32_f32_e32 v17, v3
	v_cvt_u32_f32_e32 v16, v1
	s_mov_b64 s[0:1], 0
	s_mov_b64 s[4:5], -1
	s_mov_b64 s[10:11], 0
	global_store_dwordx2 v[6:7], v[16:17], off
	s_branch .LBB21_1855
.LBB21_1854:
	s_mov_b64 s[10:11], 0
.LBB21_1855:
	s_and_b64 vcc, exec, s[10:11]
	s_cbranch_vccz .LBB21_1871
; %bb.1856:
	v_mov_b32_e32 v1, 27
	v_cmp_lt_i16_sdwa s[10:11], s16, v1 src0_sel:BYTE_0 src1_sel:DWORD
	s_mov_b64 s[4:5], -1
	s_and_b64 vcc, exec, s[10:11]
	s_cbranch_vccnz .LBB21_1862
; %bb.1857:
	v_cmp_gt_i16_sdwa s[10:11], s16, v1 src0_sel:BYTE_0 src1_sel:DWORD
	v_cvt_u32_f32_e32 v1, v8
	s_and_b64 vcc, exec, s[10:11]
	s_cbranch_vccz .LBB21_1859
; %bb.1858:
	s_mov_b64 s[4:5], 0
	global_store_dword v[6:7], v1, off
.LBB21_1859:
	s_andn2_b64 vcc, exec, s[4:5]
	s_cbranch_vccnz .LBB21_1861
; %bb.1860:
	global_store_short v[6:7], v1, off
.LBB21_1861:
	s_mov_b64 s[4:5], 0
.LBB21_1862:
	s_andn2_b64 vcc, exec, s[4:5]
	s_cbranch_vccnz .LBB21_1870
; %bb.1863:
	v_and_b32_e32 v1, 0x7fffffff, v8
	s_mov_b32 s4, 0x43800000
	v_cmp_gt_u32_e32 vcc, s4, v1
	v_mov_b32_e32 v3, 0x80
	s_and_saveexec_b64 s[4:5], vcc
	s_cbranch_execz .LBB21_1869
; %bb.1864:
	s_mov_b32 s10, 0x3bffffff
	v_cmp_lt_u32_e32 vcc, s10, v1
	s_mov_b64 s[10:11], 0
                                        ; implicit-def: $vgpr1
	s_and_saveexec_b64 s[14:15], vcc
	s_xor_b64 s[14:15], exec, s[14:15]
	s_cbranch_execz .LBB21_1965
; %bb.1865:
	v_bfe_u32 v1, v8, 20, 1
	s_mov_b32 s17, 0x487ffff
	v_add3_u32 v1, v8, v1, s17
	s_mov_b64 s[10:11], exec
	v_lshrrev_b32_e32 v1, 20, v1
	s_or_saveexec_b64 s[14:15], s[14:15]
                                        ; implicit-def: $sgpr17
	s_xor_b64 exec, exec, s[14:15]
	s_cbranch_execnz .LBB21_1966
.LBB21_1866:
	s_or_b64 exec, exec, s[14:15]
	v_mov_b32_e32 v3, s17
	s_and_saveexec_b64 s[14:15], s[10:11]
.LBB21_1867:
	v_lshrrev_b32_e32 v3, 24, v8
	s_movk_i32 s10, 0x80
	v_and_or_b32 v3, v3, s10, v1
.LBB21_1868:
	s_or_b64 exec, exec, s[14:15]
.LBB21_1869:
	s_or_b64 exec, exec, s[4:5]
	global_store_byte v[6:7], v3, off
.LBB21_1870:
	s_mov_b64 s[4:5], -1
.LBB21_1871:
	s_mov_b64 s[10:11], 0
.LBB21_1872:
	s_and_b64 vcc, exec, s[10:11]
	s_cbranch_vccz .LBB21_1912
; %bb.1873:
	v_mov_b32_e32 v1, 22
	v_cmp_gt_i16_sdwa s[10:11], s16, v1 src0_sel:BYTE_0 src1_sel:DWORD
	s_mov_b64 s[2:3], -1
	s_and_b64 vcc, exec, s[10:11]
	s_cbranch_vccz .LBB21_1905
; %bb.1874:
	v_mov_b32_e32 v1, 24
	v_cmp_lt_i16_sdwa s[4:5], s16, v1 src0_sel:BYTE_0 src1_sel:DWORD
	s_and_b64 vcc, exec, s[4:5]
	s_cbranch_vccnz .LBB21_1894
; %bb.1875:
	v_cmp_gt_i16_sdwa s[4:5], s16, v1 src0_sel:BYTE_0 src1_sel:DWORD
	s_and_b64 vcc, exec, s[4:5]
	s_cbranch_vccz .LBB21_1883
; %bb.1876:
	v_and_b32_e32 v1, 0x7fffffff, v8
	s_mov_b32 s2, 0x47800000
	v_cmp_gt_u32_e32 vcc, s2, v1
	v_mov_b32_e32 v3, 0x80
	s_and_saveexec_b64 s[2:3], vcc
	s_cbranch_execz .LBB21_1882
; %bb.1877:
	s_mov_b32 s4, 0x37ffffff
	v_cmp_lt_u32_e32 vcc, s4, v1
	s_mov_b64 s[4:5], 0
                                        ; implicit-def: $vgpr1
	s_and_saveexec_b64 s[10:11], vcc
	s_xor_b64 s[10:11], exec, s[10:11]
	s_cbranch_execz .LBB21_1969
; %bb.1878:
	v_bfe_u32 v1, v8, 21, 1
	s_mov_b32 s14, 0x88fffff
	v_add3_u32 v1, v8, v1, s14
	s_mov_b64 s[4:5], exec
	v_lshrrev_b32_e32 v1, 21, v1
	s_or_saveexec_b64 s[10:11], s[10:11]
                                        ; implicit-def: $sgpr14
	s_xor_b64 exec, exec, s[10:11]
	s_cbranch_execnz .LBB21_1970
.LBB21_1879:
	s_or_b64 exec, exec, s[10:11]
	v_mov_b32_e32 v3, s14
	s_and_saveexec_b64 s[10:11], s[4:5]
.LBB21_1880:
	v_lshrrev_b32_e32 v3, 24, v8
	s_movk_i32 s4, 0x80
	v_and_or_b32 v3, v3, s4, v1
.LBB21_1881:
	s_or_b64 exec, exec, s[10:11]
.LBB21_1882:
	s_or_b64 exec, exec, s[2:3]
	s_mov_b64 s[2:3], 0
	global_store_byte v[6:7], v3, off
.LBB21_1883:
	s_and_b64 vcc, exec, s[2:3]
	s_cbranch_vccz .LBB21_1893
; %bb.1884:
	v_and_b32_e32 v3, 0x7fffffff, v8
	s_mov_b32 s2, 0x43f00000
	v_cmp_gt_u32_e32 vcc, s2, v3
                                        ; implicit-def: $vgpr1
	s_and_saveexec_b64 s[2:3], vcc
	s_xor_b64 s[2:3], exec, s[2:3]
	s_cbranch_execz .LBB21_1890
; %bb.1885:
	s_mov_b32 s4, 0x3c7fffff
	v_cmp_lt_u32_e32 vcc, s4, v3
                                        ; implicit-def: $vgpr1
	s_and_saveexec_b64 s[4:5], vcc
	s_xor_b64 s[4:5], exec, s[4:5]
; %bb.1886:
	v_bfe_u32 v1, v8, 20, 1
	s_mov_b32 s10, 0x407ffff
	v_add3_u32 v1, v8, v1, s10
	v_lshrrev_b32_e32 v3, 20, v1
	v_and_b32_e32 v1, 0xff00000, v1
	s_mov_b32 s10, 0x7f00000
	v_mov_b32_e32 v5, 0x7e
	v_cmp_ne_u32_e32 vcc, s10, v1
	v_cndmask_b32_e32 v1, v5, v3, vcc
; %bb.1887:
	s_andn2_saveexec_b64 s[4:5], s[4:5]
; %bb.1888:
	s_mov_b32 s10, 0x46800000
	v_add_f32_e64 v1, |v8|, s10
; %bb.1889:
	s_or_b64 exec, exec, s[4:5]
                                        ; implicit-def: $vgpr3
.LBB21_1890:
	s_andn2_saveexec_b64 s[2:3], s[2:3]
; %bb.1891:
	s_mov_b32 s4, 0x7f800000
	v_mov_b32_e32 v1, 0x7e
	v_mov_b32_e32 v5, 0x7f
	v_cmp_lt_u32_e32 vcc, s4, v3
	v_cndmask_b32_e32 v1, v1, v5, vcc
; %bb.1892:
	s_or_b64 exec, exec, s[2:3]
	v_lshrrev_b32_e32 v3, 24, v8
	s_movk_i32 s2, 0x80
	v_and_or_b32 v1, v3, s2, v1
	global_store_byte v[6:7], v1, off
.LBB21_1893:
	s_mov_b64 s[2:3], 0
.LBB21_1894:
	s_andn2_b64 vcc, exec, s[2:3]
	s_cbranch_vccnz .LBB21_1904
; %bb.1895:
	v_and_b32_e32 v3, 0x7fffffff, v8
	s_mov_b32 s2, 0x47800000
	v_cmp_gt_u32_e32 vcc, s2, v3
                                        ; implicit-def: $vgpr1
	s_and_saveexec_b64 s[2:3], vcc
	s_xor_b64 s[2:3], exec, s[2:3]
	s_cbranch_execz .LBB21_1901
; %bb.1896:
	s_mov_b32 s4, 0x387fffff
	v_cmp_lt_u32_e32 vcc, s4, v3
                                        ; implicit-def: $vgpr1
	s_and_saveexec_b64 s[4:5], vcc
	s_xor_b64 s[4:5], exec, s[4:5]
; %bb.1897:
	v_bfe_u32 v1, v8, 21, 1
	s_mov_b32 s10, 0x80fffff
	v_add3_u32 v1, v8, v1, s10
	v_lshrrev_b32_e32 v1, 21, v1
; %bb.1898:
	s_andn2_saveexec_b64 s[4:5], s[4:5]
; %bb.1899:
	s_mov_b32 s10, 0x43000000
	v_add_f32_e64 v1, |v8|, s10
; %bb.1900:
	s_or_b64 exec, exec, s[4:5]
                                        ; implicit-def: $vgpr3
.LBB21_1901:
	s_andn2_saveexec_b64 s[2:3], s[2:3]
; %bb.1902:
	s_mov_b32 s4, 0x7f800000
	v_mov_b32_e32 v1, 0x7c
	v_mov_b32_e32 v5, 0x7f
	v_cmp_lt_u32_e32 vcc, s4, v3
	v_cndmask_b32_e32 v1, v1, v5, vcc
; %bb.1903:
	s_or_b64 exec, exec, s[2:3]
	v_lshrrev_b32_e32 v3, 24, v8
	s_movk_i32 s2, 0x80
	v_and_or_b32 v1, v3, s2, v1
	global_store_byte v[6:7], v1, off
.LBB21_1904:
	s_mov_b64 s[2:3], 0
	s_mov_b64 s[4:5], -1
.LBB21_1905:
	s_andn2_b64 vcc, exec, s[2:3]
	s_mov_b64 s[2:3], 0
	s_cbranch_vccnz .LBB21_1912
; %bb.1906:
	v_mov_b32_e32 v1, 14
	v_cmp_gt_i16_sdwa s[2:3], s16, v1 src0_sel:BYTE_0 src1_sel:DWORD
	s_mov_b64 s[10:11], -1
	s_and_b64 vcc, exec, s[2:3]
	s_cbranch_vccz .LBB21_1910
; %bb.1907:
	v_mov_b32_e32 v1, 15
	v_cmp_eq_u16_sdwa s[2:3], s16, v1 src0_sel:BYTE_0 src1_sel:DWORD
	s_mov_b64 s[0:1], -1
	s_and_b64 vcc, exec, s[2:3]
	s_cbranch_vccz .LBB21_1909
; %bb.1908:
	v_bfe_u32 v1, v8, 16, 1
	s_movk_i32 s0, 0x7fff
	v_add3_u32 v1, v8, v1, s0
	v_lshrrev_b32_e32 v1, 16, v1
	v_mov_b32_e32 v3, 0x7fc0
	v_cmp_o_f32_e32 vcc, v8, v8
	v_cndmask_b32_e32 v1, v3, v1, vcc
	global_store_short v[6:7], v1, off
	s_mov_b64 s[0:1], 0
	s_mov_b64 s[4:5], -1
.LBB21_1909:
	s_mov_b64 s[10:11], 0
.LBB21_1910:
	s_mov_b64 s[2:3], 0
	s_and_b64 vcc, exec, s[10:11]
	s_cbranch_vccz .LBB21_1912
; %bb.1911:
	v_mov_b32_e32 v1, 11
	v_cmp_ne_u16_sdwa s[0:1], s16, v1 src0_sel:BYTE_0 src1_sel:DWORD
	s_mov_b64 s[2:3], -1
.LBB21_1912:
	s_and_b64 vcc, exec, s[0:1]
	s_cbranch_vccnz .LBB21_1968
; %bb.1913:
	s_andn2_b64 vcc, exec, s[2:3]
	s_cbranch_vccnz .LBB21_1915
.LBB21_1914:
	v_cmp_neq_f32_e32 vcc, 0, v8
	v_cndmask_b32_e64 v1, 0, 1, vcc
	s_mov_b64 s[4:5], -1
	global_store_byte v[6:7], v1, off
.LBB21_1915:
	s_mov_b64 s[0:1], 0
.LBB21_1916:
	s_and_b64 vcc, exec, s[0:1]
	s_cbranch_vccz .LBB21_1955
; %bb.1917:
	v_mov_b32_e32 v1, 5
	v_cmp_lt_i16_sdwa s[2:3], s16, v1 src0_sel:BYTE_0 src1_sel:DWORD
	s_mov_b64 s[0:1], -1
	s_and_b64 vcc, exec, s[2:3]
	s_cbranch_vccnz .LBB21_1938
; %bb.1918:
	v_mov_b32_e32 v1, 8
	v_cmp_lt_i16_sdwa s[2:3], s16, v1 src0_sel:BYTE_0 src1_sel:DWORD
	s_and_b64 vcc, exec, s[2:3]
	s_cbranch_vccnz .LBB21_1928
; %bb.1919:
	v_mov_b32_e32 v1, 9
	v_cmp_lt_i16_sdwa s[2:3], s16, v1 src0_sel:BYTE_0 src1_sel:DWORD
	s_and_b64 vcc, exec, s[2:3]
	s_cbranch_vccnz .LBB21_1925
; %bb.1920:
	v_cmp_gt_i16_sdwa s[2:3], s16, v1 src0_sel:BYTE_0 src1_sel:DWORD
	s_and_b64 vcc, exec, s[2:3]
	s_cbranch_vccz .LBB21_1922
; %bb.1921:
	v_mov_b32_e32 v18, 0
	v_cvt_f64_f32_e32 v[16:17], v8
	v_mov_b32_e32 v19, v18
	global_store_dwordx4 v[6:7], v[16:19], off
	s_mov_b64 s[0:1], 0
.LBB21_1922:
	s_andn2_b64 vcc, exec, s[0:1]
	s_cbranch_vccnz .LBB21_1924
; %bb.1923:
	v_mov_b32_e32 v9, 0
	global_store_dwordx2 v[6:7], v[8:9], off
.LBB21_1924:
	s_mov_b64 s[0:1], 0
.LBB21_1925:
	s_andn2_b64 vcc, exec, s[0:1]
	s_cbranch_vccnz .LBB21_1927
; %bb.1926:
	v_cvt_f16_f32_e32 v1, v8
	global_store_dword v[6:7], v1, off
.LBB21_1927:
	s_mov_b64 s[0:1], 0
.LBB21_1928:
	s_andn2_b64 vcc, exec, s[0:1]
	s_cbranch_vccnz .LBB21_1937
; %bb.1929:
	v_mov_b32_e32 v1, 6
	v_cmp_lt_i16_sdwa s[2:3], s16, v1 src0_sel:BYTE_0 src1_sel:DWORD
	s_mov_b64 s[0:1], -1
	s_and_b64 vcc, exec, s[2:3]
	s_cbranch_vccnz .LBB21_1935
; %bb.1930:
	v_cmp_gt_i16_sdwa s[2:3], s16, v1 src0_sel:BYTE_0 src1_sel:DWORD
	s_and_b64 vcc, exec, s[2:3]
	s_cbranch_vccz .LBB21_1932
; %bb.1931:
	v_cvt_f64_f32_e32 v[16:17], v8
	global_store_dwordx2 v[6:7], v[16:17], off
	s_mov_b64 s[0:1], 0
.LBB21_1932:
	s_andn2_b64 vcc, exec, s[0:1]
	s_cbranch_vccnz .LBB21_1934
; %bb.1933:
	global_store_dword v[6:7], v8, off
.LBB21_1934:
	s_mov_b64 s[0:1], 0
.LBB21_1935:
	s_andn2_b64 vcc, exec, s[0:1]
	s_cbranch_vccnz .LBB21_1937
; %bb.1936:
	v_cvt_f16_f32_e32 v1, v8
	global_store_short v[6:7], v1, off
.LBB21_1937:
	s_mov_b64 s[0:1], 0
.LBB21_1938:
	s_andn2_b64 vcc, exec, s[0:1]
	s_cbranch_vccnz .LBB21_1954
; %bb.1939:
	v_mov_b32_e32 v1, 2
	v_cmp_lt_i16_sdwa s[2:3], s16, v1 src0_sel:BYTE_0 src1_sel:DWORD
	s_mov_b64 s[0:1], -1
	s_and_b64 vcc, exec, s[2:3]
	s_cbranch_vccnz .LBB21_1949
; %bb.1940:
	v_mov_b32_e32 v1, 3
	v_cmp_lt_i16_sdwa s[2:3], s16, v1 src0_sel:BYTE_0 src1_sel:DWORD
	s_and_b64 vcc, exec, s[2:3]
	s_cbranch_vccnz .LBB21_1946
; %bb.1941:
	v_cmp_gt_i16_sdwa s[2:3], s16, v1 src0_sel:BYTE_0 src1_sel:DWORD
	s_and_b64 vcc, exec, s[2:3]
	s_cbranch_vccz .LBB21_1943
; %bb.1942:
	v_trunc_f32_e32 v1, v8
	s_mov_b32 s0, 0x2f800000
	v_mul_f32_e64 v3, |v1|, s0
	v_floor_f32_e32 v3, v3
	s_mov_b32 s0, 0xcf800000
	v_cvt_u32_f32_e32 v5, v3
	v_fma_f32 v3, v3, s0, |v1|
	v_cvt_u32_f32_e32 v3, v3
	v_ashrrev_i32_e32 v1, 31, v1
	v_xor_b32_e32 v5, v5, v1
	s_mov_b64 s[0:1], 0
	v_xor_b32_e32 v3, v3, v1
	v_sub_co_u32_e32 v16, vcc, v3, v1
	v_subb_co_u32_e32 v17, vcc, v5, v1, vcc
	global_store_dwordx2 v[6:7], v[16:17], off
.LBB21_1943:
	s_andn2_b64 vcc, exec, s[0:1]
	s_cbranch_vccnz .LBB21_1945
; %bb.1944:
	v_cvt_i32_f32_e32 v1, v8
	global_store_dword v[6:7], v1, off
.LBB21_1945:
	s_mov_b64 s[0:1], 0
.LBB21_1946:
	s_andn2_b64 vcc, exec, s[0:1]
	s_cbranch_vccnz .LBB21_1948
; %bb.1947:
	v_cvt_i32_f32_e32 v1, v8
	global_store_short v[6:7], v1, off
.LBB21_1948:
	s_mov_b64 s[0:1], 0
.LBB21_1949:
	s_andn2_b64 vcc, exec, s[0:1]
	s_cbranch_vccnz .LBB21_1954
; %bb.1950:
	v_mov_b32_e32 v1, 0
	v_cmp_gt_i16_sdwa s[2:3], s16, v1 src0_sel:BYTE_0 src1_sel:DWORD
	s_mov_b64 s[0:1], -1
	s_and_b64 vcc, exec, s[2:3]
	s_cbranch_vccz .LBB21_1952
; %bb.1951:
	v_cvt_i32_f32_e32 v1, v8
	s_mov_b64 s[0:1], 0
	global_store_byte v[6:7], v1, off
.LBB21_1952:
	s_andn2_b64 vcc, exec, s[0:1]
	s_cbranch_vccnz .LBB21_1954
; %bb.1953:
	v_trunc_f32_e32 v1, v8
	s_mov_b32 s0, 0x2f800000
	v_mul_f32_e64 v3, |v1|, s0
	v_floor_f32_e32 v3, v3
	s_mov_b32 s0, 0xcf800000
	v_fma_f32 v3, v3, s0, |v1|
	v_cvt_u32_f32_e32 v3, v3
	v_ashrrev_i32_e32 v1, 31, v1
	v_xor_b32_e32 v3, v3, v1
	v_sub_u32_e32 v1, v3, v1
	global_store_byte v[6:7], v1, off
.LBB21_1954:
	s_mov_b64 s[4:5], -1
.LBB21_1955:
	s_andn2_b64 vcc, exec, s[4:5]
	s_cbranch_vccnz .LBB21_2286
; %bb.1956:
	v_mov_b32_e32 v1, s9
	v_add_co_u32_e32 v4, vcc, s8, v4
	v_addc_co_u32_e32 v5, vcc, 0, v1, vcc
	v_mov_b32_e32 v1, 11
	v_cmp_lt_i16_sdwa s[0:1], s16, v1 src0_sel:BYTE_0 src1_sel:DWORD
	s_and_b64 vcc, exec, s[0:1]
	s_cbranch_vccnz .LBB21_1963
; %bb.1957:
	v_mov_b32_e32 v1, 25
	v_cmp_gt_i16_sdwa s[0:1], s16, v1 src0_sel:BYTE_0 src1_sel:DWORD
	s_mov_b64 s[10:11], -1
	s_mov_b64 s[2:3], 0
	s_and_b64 vcc, exec, s[0:1]
	s_mov_b64 s[4:5], 0
	s_mov_b64 s[0:1], 0
	s_cbranch_vccz .LBB21_1999
; %bb.1958:
	v_mov_b32_e32 v1, 28
	v_cmp_gt_i16_sdwa s[0:1], s16, v1 src0_sel:BYTE_0 src1_sel:DWORD
	s_and_b64 vcc, exec, s[0:1]
	s_cbranch_vccz .LBB21_1964
; %bb.1959:
	v_mov_b32_e32 v1, 43
	v_cmp_gt_i16_sdwa s[0:1], s16, v1 src0_sel:BYTE_0 src1_sel:DWORD
	s_and_b64 vcc, exec, s[0:1]
	;; [unrolled: 5-line block ×3, first 2 shown]
	s_cbranch_vccz .LBB21_1971
; %bb.1961:
	v_mov_b32_e32 v1, 46
	v_cmp_eq_u16_sdwa s[4:5], s16, v1 src0_sel:BYTE_0 src1_sel:DWORD
	s_mov_b64 s[0:1], -1
	s_mov_b64 s[10:11], 0
	s_and_b64 vcc, exec, s[4:5]
	s_mov_b64 s[4:5], 0
	s_cbranch_vccz .LBB21_1972
; %bb.1962:
	v_bfe_u32 v1, v10, 16, 1
	s_movk_i32 s0, 0x7fff
	v_add3_u32 v1, v10, v1, s0
	v_lshrrev_b32_e32 v1, 16, v1
	v_mov_b32_e32 v3, 0x7fc0
	v_cmp_o_f32_e32 vcc, v10, v10
	v_cndmask_b32_e32 v1, v3, v1, vcc
	global_store_dword v[4:5], v1, off
	s_mov_b64 s[0:1], 0
	s_mov_b64 s[4:5], -1
	s_branch .LBB21_1972
.LBB21_1963:
	s_mov_b64 s[0:1], -1
	s_mov_b64 s[4:5], 0
	s_branch .LBB21_2043
.LBB21_1964:
	s_mov_b64 s[0:1], 0
	s_branch .LBB21_1982
.LBB21_1965:
	s_or_saveexec_b64 s[14:15], s[14:15]
                                        ; implicit-def: $sgpr17
	s_xor_b64 exec, exec, s[14:15]
	s_cbranch_execz .LBB21_1866
.LBB21_1966:
	s_mov_b32 s17, 0x46000000
	v_add_f32_e64 v1, |v8|, s17
	v_and_b32_e32 v1, 0xff, v1
	v_cmp_ne_u32_e32 vcc, 0, v1
	s_andn2_b64 s[10:11], s[10:11], exec
	s_and_b64 s[18:19], vcc, exec
	s_mov_b32 s17, 0
	s_or_b64 s[10:11], s[10:11], s[18:19]
	s_or_b64 exec, exec, s[14:15]
	v_mov_b32_e32 v3, s17
	s_and_saveexec_b64 s[14:15], s[10:11]
	s_cbranch_execnz .LBB21_1867
	s_branch .LBB21_1868
.LBB21_1967:
	s_mov_b64 s[0:1], 0
	s_branch .LBB21_1978
.LBB21_1968:
	s_trap 2
	s_or_b64 s[12:13], s[12:13], exec
	s_cbranch_execz .LBB21_1914
	s_branch .LBB21_1915
.LBB21_1969:
	s_or_saveexec_b64 s[10:11], s[10:11]
                                        ; implicit-def: $sgpr14
	s_xor_b64 exec, exec, s[10:11]
	s_cbranch_execz .LBB21_1879
.LBB21_1970:
	s_mov_b32 s14, 0x42800000
	v_add_f32_e64 v1, |v8|, s14
	v_and_b32_e32 v1, 0xff, v1
	v_cmp_ne_u32_e32 vcc, 0, v1
	s_andn2_b64 s[4:5], s[4:5], exec
	s_and_b64 s[18:19], vcc, exec
	s_mov_b32 s14, 0
	s_or_b64 s[4:5], s[4:5], s[18:19]
	s_or_b64 exec, exec, s[10:11]
	v_mov_b32_e32 v3, s14
	s_and_saveexec_b64 s[10:11], s[4:5]
	s_cbranch_execnz .LBB21_1880
	s_branch .LBB21_1881
.LBB21_1971:
	s_mov_b64 s[0:1], 0
.LBB21_1972:
	s_and_b64 vcc, exec, s[10:11]
	s_cbranch_vccz .LBB21_1977
; %bb.1973:
	v_mov_b32_e32 v1, 44
	v_cmp_eq_u16_sdwa s[10:11], s16, v1 src0_sel:BYTE_0 src1_sel:DWORD
	s_mov_b64 s[0:1], -1
	s_and_b64 vcc, exec, s[10:11]
	s_cbranch_vccz .LBB21_1977
; %bb.1974:
	v_bfe_u32 v1, v10, 23, 8
	s_movk_i32 s0, 0xff
	v_cmp_ne_u32_e32 vcc, s0, v1
	v_mov_b32_e32 v3, 0xff
	s_and_saveexec_b64 s[4:5], vcc
; %bb.1975:
	s_mov_b32 s0, 0x3fffff
	v_and_b32_e32 v6, 0x400000, v10
	v_and_or_b32 v1, v10, s0, v1
	v_cmp_ne_u32_e32 vcc, 0, v6
	v_cmp_ne_u32_e64 s[0:1], 0, v1
	s_and_b64 s[0:1], vcc, s[0:1]
	v_lshrrev_b32_e32 v3, 23, v10
	v_cndmask_b32_e64 v1, 0, 1, s[0:1]
	v_add_u32_e32 v3, v3, v1
; %bb.1976:
	s_or_b64 exec, exec, s[4:5]
	s_mov_b64 s[0:1], 0
	s_mov_b64 s[4:5], -1
	global_store_byte v[4:5], v3, off
.LBB21_1977:
	s_mov_b64 s[10:11], 0
.LBB21_1978:
	s_and_b64 vcc, exec, s[10:11]
	s_cbranch_vccz .LBB21_1981
; %bb.1979:
	v_mov_b32_e32 v1, 29
	v_cmp_eq_u16_sdwa s[10:11], s16, v1 src0_sel:BYTE_0 src1_sel:DWORD
	s_mov_b64 s[0:1], -1
	s_and_b64 vcc, exec, s[10:11]
	s_cbranch_vccz .LBB21_1981
; %bb.1980:
	v_trunc_f32_e32 v1, v10
	v_mul_f32_e32 v3, 0x2f800000, v1
	v_floor_f32_e32 v3, v3
	v_fmac_f32_e32 v1, 0xcf800000, v3
	v_cvt_u32_f32_e32 v7, v3
	v_cvt_u32_f32_e32 v6, v1
	s_mov_b64 s[0:1], 0
	s_mov_b64 s[4:5], -1
	s_mov_b64 s[10:11], 0
	global_store_dwordx2 v[4:5], v[6:7], off
	s_branch .LBB21_1982
.LBB21_1981:
	s_mov_b64 s[10:11], 0
.LBB21_1982:
	s_and_b64 vcc, exec, s[10:11]
	s_cbranch_vccz .LBB21_1998
; %bb.1983:
	v_mov_b32_e32 v1, 27
	v_cmp_lt_i16_sdwa s[10:11], s16, v1 src0_sel:BYTE_0 src1_sel:DWORD
	s_mov_b64 s[4:5], -1
	s_and_b64 vcc, exec, s[10:11]
	s_cbranch_vccnz .LBB21_1989
; %bb.1984:
	v_cmp_gt_i16_sdwa s[10:11], s16, v1 src0_sel:BYTE_0 src1_sel:DWORD
	s_and_b64 vcc, exec, s[10:11]
	s_cbranch_vccz .LBB21_1986
; %bb.1985:
	v_cvt_u32_f32_e32 v1, v10
	s_mov_b64 s[4:5], 0
	global_store_dword v[4:5], v1, off
.LBB21_1986:
	s_andn2_b64 vcc, exec, s[4:5]
	s_cbranch_vccnz .LBB21_1988
; %bb.1987:
	v_cvt_u32_f32_e32 v1, v10
	global_store_short v[4:5], v1, off
.LBB21_1988:
	s_mov_b64 s[4:5], 0
.LBB21_1989:
	s_andn2_b64 vcc, exec, s[4:5]
	s_cbranch_vccnz .LBB21_1997
; %bb.1990:
	v_and_b32_e32 v1, 0x7fffffff, v10
	s_mov_b32 s4, 0x43800000
	v_cmp_gt_u32_e32 vcc, s4, v1
	v_mov_b32_e32 v3, 0x80
	s_and_saveexec_b64 s[4:5], vcc
	s_cbranch_execz .LBB21_1996
; %bb.1991:
	s_mov_b32 s10, 0x3bffffff
	v_cmp_lt_u32_e32 vcc, s10, v1
	s_mov_b64 s[10:11], 0
                                        ; implicit-def: $vgpr1
	s_and_saveexec_b64 s[14:15], vcc
	s_xor_b64 s[14:15], exec, s[14:15]
	s_cbranch_execz .LBB21_2092
; %bb.1992:
	v_bfe_u32 v1, v10, 20, 1
	s_mov_b32 s17, 0x487ffff
	v_add3_u32 v1, v10, v1, s17
	s_mov_b64 s[10:11], exec
	v_lshrrev_b32_e32 v1, 20, v1
	s_or_saveexec_b64 s[14:15], s[14:15]
                                        ; implicit-def: $sgpr17
	s_xor_b64 exec, exec, s[14:15]
	s_cbranch_execnz .LBB21_2093
.LBB21_1993:
	s_or_b64 exec, exec, s[14:15]
	v_mov_b32_e32 v3, s17
	s_and_saveexec_b64 s[14:15], s[10:11]
.LBB21_1994:
	v_lshrrev_b32_e32 v3, 24, v10
	s_movk_i32 s10, 0x80
	v_and_or_b32 v3, v3, s10, v1
.LBB21_1995:
	s_or_b64 exec, exec, s[14:15]
.LBB21_1996:
	s_or_b64 exec, exec, s[4:5]
	global_store_byte v[4:5], v3, off
.LBB21_1997:
	s_mov_b64 s[4:5], -1
.LBB21_1998:
	s_mov_b64 s[10:11], 0
.LBB21_1999:
	s_and_b64 vcc, exec, s[10:11]
	s_cbranch_vccz .LBB21_2039
; %bb.2000:
	v_mov_b32_e32 v1, 22
	v_cmp_gt_i16_sdwa s[10:11], s16, v1 src0_sel:BYTE_0 src1_sel:DWORD
	s_mov_b64 s[2:3], -1
	s_and_b64 vcc, exec, s[10:11]
	s_cbranch_vccz .LBB21_2032
; %bb.2001:
	v_mov_b32_e32 v1, 24
	v_cmp_lt_i16_sdwa s[4:5], s16, v1 src0_sel:BYTE_0 src1_sel:DWORD
	s_and_b64 vcc, exec, s[4:5]
	s_cbranch_vccnz .LBB21_2021
; %bb.2002:
	v_cmp_gt_i16_sdwa s[4:5], s16, v1 src0_sel:BYTE_0 src1_sel:DWORD
	s_and_b64 vcc, exec, s[4:5]
	s_cbranch_vccz .LBB21_2010
; %bb.2003:
	v_and_b32_e32 v1, 0x7fffffff, v10
	s_mov_b32 s2, 0x47800000
	v_cmp_gt_u32_e32 vcc, s2, v1
	v_mov_b32_e32 v3, 0x80
	s_and_saveexec_b64 s[2:3], vcc
	s_cbranch_execz .LBB21_2009
; %bb.2004:
	s_mov_b32 s4, 0x37ffffff
	v_cmp_lt_u32_e32 vcc, s4, v1
	s_mov_b64 s[4:5], 0
                                        ; implicit-def: $vgpr1
	s_and_saveexec_b64 s[10:11], vcc
	s_xor_b64 s[10:11], exec, s[10:11]
	s_cbranch_execz .LBB21_2096
; %bb.2005:
	v_bfe_u32 v1, v10, 21, 1
	s_mov_b32 s14, 0x88fffff
	v_add3_u32 v1, v10, v1, s14
	s_mov_b64 s[4:5], exec
	v_lshrrev_b32_e32 v1, 21, v1
	s_or_saveexec_b64 s[10:11], s[10:11]
                                        ; implicit-def: $sgpr14
	s_xor_b64 exec, exec, s[10:11]
	s_cbranch_execnz .LBB21_2097
.LBB21_2006:
	s_or_b64 exec, exec, s[10:11]
	v_mov_b32_e32 v3, s14
	s_and_saveexec_b64 s[10:11], s[4:5]
.LBB21_2007:
	v_lshrrev_b32_e32 v3, 24, v10
	s_movk_i32 s4, 0x80
	v_and_or_b32 v3, v3, s4, v1
.LBB21_2008:
	s_or_b64 exec, exec, s[10:11]
.LBB21_2009:
	s_or_b64 exec, exec, s[2:3]
	s_mov_b64 s[2:3], 0
	global_store_byte v[4:5], v3, off
.LBB21_2010:
	s_and_b64 vcc, exec, s[2:3]
	s_cbranch_vccz .LBB21_2020
; %bb.2011:
	v_and_b32_e32 v3, 0x7fffffff, v10
	s_mov_b32 s2, 0x43f00000
	v_cmp_gt_u32_e32 vcc, s2, v3
                                        ; implicit-def: $vgpr1
	s_and_saveexec_b64 s[2:3], vcc
	s_xor_b64 s[2:3], exec, s[2:3]
	s_cbranch_execz .LBB21_2017
; %bb.2012:
	s_mov_b32 s4, 0x3c7fffff
	v_cmp_lt_u32_e32 vcc, s4, v3
                                        ; implicit-def: $vgpr1
	s_and_saveexec_b64 s[4:5], vcc
	s_xor_b64 s[4:5], exec, s[4:5]
; %bb.2013:
	v_bfe_u32 v1, v10, 20, 1
	s_mov_b32 s10, 0x407ffff
	v_add3_u32 v1, v10, v1, s10
	v_lshrrev_b32_e32 v3, 20, v1
	v_and_b32_e32 v1, 0xff00000, v1
	s_mov_b32 s10, 0x7f00000
	v_mov_b32_e32 v6, 0x7e
	v_cmp_ne_u32_e32 vcc, s10, v1
	v_cndmask_b32_e32 v1, v6, v3, vcc
; %bb.2014:
	s_andn2_saveexec_b64 s[4:5], s[4:5]
; %bb.2015:
	s_mov_b32 s10, 0x46800000
	v_add_f32_e64 v1, |v10|, s10
; %bb.2016:
	s_or_b64 exec, exec, s[4:5]
                                        ; implicit-def: $vgpr3
.LBB21_2017:
	s_andn2_saveexec_b64 s[2:3], s[2:3]
; %bb.2018:
	s_mov_b32 s4, 0x7f800000
	v_mov_b32_e32 v1, 0x7e
	v_mov_b32_e32 v6, 0x7f
	v_cmp_lt_u32_e32 vcc, s4, v3
	v_cndmask_b32_e32 v1, v1, v6, vcc
; %bb.2019:
	s_or_b64 exec, exec, s[2:3]
	v_lshrrev_b32_e32 v3, 24, v10
	s_movk_i32 s2, 0x80
	v_and_or_b32 v1, v3, s2, v1
	global_store_byte v[4:5], v1, off
.LBB21_2020:
	s_mov_b64 s[2:3], 0
.LBB21_2021:
	s_andn2_b64 vcc, exec, s[2:3]
	s_cbranch_vccnz .LBB21_2031
; %bb.2022:
	v_and_b32_e32 v3, 0x7fffffff, v10
	s_mov_b32 s2, 0x47800000
	v_cmp_gt_u32_e32 vcc, s2, v3
                                        ; implicit-def: $vgpr1
	s_and_saveexec_b64 s[2:3], vcc
	s_xor_b64 s[2:3], exec, s[2:3]
	s_cbranch_execz .LBB21_2028
; %bb.2023:
	s_mov_b32 s4, 0x387fffff
	v_cmp_lt_u32_e32 vcc, s4, v3
                                        ; implicit-def: $vgpr1
	s_and_saveexec_b64 s[4:5], vcc
	s_xor_b64 s[4:5], exec, s[4:5]
; %bb.2024:
	v_bfe_u32 v1, v10, 21, 1
	s_mov_b32 s10, 0x80fffff
	v_add3_u32 v1, v10, v1, s10
	v_lshrrev_b32_e32 v1, 21, v1
; %bb.2025:
	s_andn2_saveexec_b64 s[4:5], s[4:5]
; %bb.2026:
	s_mov_b32 s10, 0x43000000
	v_add_f32_e64 v1, |v10|, s10
; %bb.2027:
	s_or_b64 exec, exec, s[4:5]
                                        ; implicit-def: $vgpr3
.LBB21_2028:
	s_andn2_saveexec_b64 s[2:3], s[2:3]
; %bb.2029:
	s_mov_b32 s4, 0x7f800000
	v_mov_b32_e32 v1, 0x7c
	v_mov_b32_e32 v6, 0x7f
	v_cmp_lt_u32_e32 vcc, s4, v3
	v_cndmask_b32_e32 v1, v1, v6, vcc
; %bb.2030:
	s_or_b64 exec, exec, s[2:3]
	v_lshrrev_b32_e32 v3, 24, v10
	s_movk_i32 s2, 0x80
	v_and_or_b32 v1, v3, s2, v1
	global_store_byte v[4:5], v1, off
.LBB21_2031:
	s_mov_b64 s[2:3], 0
	s_mov_b64 s[4:5], -1
.LBB21_2032:
	s_andn2_b64 vcc, exec, s[2:3]
	s_mov_b64 s[2:3], 0
	s_cbranch_vccnz .LBB21_2039
; %bb.2033:
	v_mov_b32_e32 v1, 14
	v_cmp_gt_i16_sdwa s[2:3], s16, v1 src0_sel:BYTE_0 src1_sel:DWORD
	s_mov_b64 s[10:11], -1
	s_and_b64 vcc, exec, s[2:3]
	s_cbranch_vccz .LBB21_2037
; %bb.2034:
	v_mov_b32_e32 v1, 15
	v_cmp_eq_u16_sdwa s[2:3], s16, v1 src0_sel:BYTE_0 src1_sel:DWORD
	s_mov_b64 s[0:1], -1
	s_and_b64 vcc, exec, s[2:3]
	s_cbranch_vccz .LBB21_2036
; %bb.2035:
	v_bfe_u32 v1, v10, 16, 1
	s_movk_i32 s0, 0x7fff
	v_add3_u32 v1, v10, v1, s0
	v_lshrrev_b32_e32 v1, 16, v1
	v_mov_b32_e32 v3, 0x7fc0
	v_cmp_o_f32_e32 vcc, v10, v10
	v_cndmask_b32_e32 v1, v3, v1, vcc
	global_store_short v[4:5], v1, off
	s_mov_b64 s[0:1], 0
	s_mov_b64 s[4:5], -1
.LBB21_2036:
	s_mov_b64 s[10:11], 0
.LBB21_2037:
	s_mov_b64 s[2:3], 0
	s_and_b64 vcc, exec, s[10:11]
	s_cbranch_vccz .LBB21_2039
; %bb.2038:
	v_mov_b32_e32 v1, 11
	v_cmp_ne_u16_sdwa s[0:1], s16, v1 src0_sel:BYTE_0 src1_sel:DWORD
	s_mov_b64 s[2:3], -1
.LBB21_2039:
	s_and_b64 vcc, exec, s[0:1]
	s_cbranch_vccnz .LBB21_2095
; %bb.2040:
	s_andn2_b64 vcc, exec, s[2:3]
	s_cbranch_vccnz .LBB21_2042
.LBB21_2041:
	v_cmp_neq_f32_e32 vcc, 0, v10
	v_cndmask_b32_e64 v1, 0, 1, vcc
	s_mov_b64 s[4:5], -1
	global_store_byte v[4:5], v1, off
.LBB21_2042:
	s_mov_b64 s[0:1], 0
.LBB21_2043:
	s_and_b64 vcc, exec, s[0:1]
	s_cbranch_vccz .LBB21_2082
; %bb.2044:
	v_mov_b32_e32 v1, 5
	v_cmp_lt_i16_sdwa s[2:3], s16, v1 src0_sel:BYTE_0 src1_sel:DWORD
	s_mov_b64 s[0:1], -1
	s_and_b64 vcc, exec, s[2:3]
	s_cbranch_vccnz .LBB21_2065
; %bb.2045:
	v_mov_b32_e32 v1, 8
	v_cmp_lt_i16_sdwa s[2:3], s16, v1 src0_sel:BYTE_0 src1_sel:DWORD
	s_and_b64 vcc, exec, s[2:3]
	s_cbranch_vccnz .LBB21_2055
; %bb.2046:
	v_mov_b32_e32 v1, 9
	v_cmp_lt_i16_sdwa s[2:3], s16, v1 src0_sel:BYTE_0 src1_sel:DWORD
	s_and_b64 vcc, exec, s[2:3]
	s_cbranch_vccnz .LBB21_2052
; %bb.2047:
	v_cmp_gt_i16_sdwa s[2:3], s16, v1 src0_sel:BYTE_0 src1_sel:DWORD
	s_and_b64 vcc, exec, s[2:3]
	s_cbranch_vccz .LBB21_2049
; %bb.2048:
	v_mov_b32_e32 v8, 0
	v_cvt_f64_f32_e32 v[6:7], v10
	v_mov_b32_e32 v9, v8
	global_store_dwordx4 v[4:5], v[6:9], off
	s_mov_b64 s[0:1], 0
.LBB21_2049:
	s_andn2_b64 vcc, exec, s[0:1]
	s_cbranch_vccnz .LBB21_2051
; %bb.2050:
	v_mov_b32_e32 v11, 0
	global_store_dwordx2 v[4:5], v[10:11], off
.LBB21_2051:
	s_mov_b64 s[0:1], 0
.LBB21_2052:
	s_andn2_b64 vcc, exec, s[0:1]
	s_cbranch_vccnz .LBB21_2054
; %bb.2053:
	v_cvt_f16_f32_e32 v1, v10
	global_store_dword v[4:5], v1, off
.LBB21_2054:
	s_mov_b64 s[0:1], 0
.LBB21_2055:
	s_andn2_b64 vcc, exec, s[0:1]
	s_cbranch_vccnz .LBB21_2064
; %bb.2056:
	v_mov_b32_e32 v1, 6
	v_cmp_lt_i16_sdwa s[2:3], s16, v1 src0_sel:BYTE_0 src1_sel:DWORD
	s_mov_b64 s[0:1], -1
	s_and_b64 vcc, exec, s[2:3]
	s_cbranch_vccnz .LBB21_2062
; %bb.2057:
	v_cmp_gt_i16_sdwa s[2:3], s16, v1 src0_sel:BYTE_0 src1_sel:DWORD
	s_and_b64 vcc, exec, s[2:3]
	s_cbranch_vccz .LBB21_2059
; %bb.2058:
	v_cvt_f64_f32_e32 v[6:7], v10
	global_store_dwordx2 v[4:5], v[6:7], off
	s_mov_b64 s[0:1], 0
.LBB21_2059:
	s_andn2_b64 vcc, exec, s[0:1]
	s_cbranch_vccnz .LBB21_2061
; %bb.2060:
	global_store_dword v[4:5], v10, off
.LBB21_2061:
	s_mov_b64 s[0:1], 0
.LBB21_2062:
	s_andn2_b64 vcc, exec, s[0:1]
	s_cbranch_vccnz .LBB21_2064
; %bb.2063:
	v_cvt_f16_f32_e32 v1, v10
	global_store_short v[4:5], v1, off
.LBB21_2064:
	s_mov_b64 s[0:1], 0
.LBB21_2065:
	s_andn2_b64 vcc, exec, s[0:1]
	s_cbranch_vccnz .LBB21_2081
; %bb.2066:
	v_mov_b32_e32 v1, 2
	v_cmp_lt_i16_sdwa s[2:3], s16, v1 src0_sel:BYTE_0 src1_sel:DWORD
	s_mov_b64 s[0:1], -1
	s_and_b64 vcc, exec, s[2:3]
	s_cbranch_vccnz .LBB21_2076
; %bb.2067:
	v_mov_b32_e32 v1, 3
	v_cmp_lt_i16_sdwa s[2:3], s16, v1 src0_sel:BYTE_0 src1_sel:DWORD
	s_and_b64 vcc, exec, s[2:3]
	s_cbranch_vccnz .LBB21_2073
; %bb.2068:
	v_cmp_gt_i16_sdwa s[2:3], s16, v1 src0_sel:BYTE_0 src1_sel:DWORD
	s_and_b64 vcc, exec, s[2:3]
	s_cbranch_vccz .LBB21_2070
; %bb.2069:
	v_trunc_f32_e32 v1, v10
	s_mov_b32 s0, 0x2f800000
	v_mul_f32_e64 v3, |v1|, s0
	v_floor_f32_e32 v3, v3
	s_mov_b32 s0, 0xcf800000
	v_cvt_u32_f32_e32 v6, v3
	v_fma_f32 v3, v3, s0, |v1|
	v_cvt_u32_f32_e32 v3, v3
	v_ashrrev_i32_e32 v1, 31, v1
	v_xor_b32_e32 v7, v6, v1
	s_mov_b64 s[0:1], 0
	v_xor_b32_e32 v3, v3, v1
	v_sub_co_u32_e32 v6, vcc, v3, v1
	v_subb_co_u32_e32 v7, vcc, v7, v1, vcc
	global_store_dwordx2 v[4:5], v[6:7], off
.LBB21_2070:
	s_andn2_b64 vcc, exec, s[0:1]
	s_cbranch_vccnz .LBB21_2072
; %bb.2071:
	v_cvt_i32_f32_e32 v1, v10
	global_store_dword v[4:5], v1, off
.LBB21_2072:
	s_mov_b64 s[0:1], 0
.LBB21_2073:
	s_andn2_b64 vcc, exec, s[0:1]
	s_cbranch_vccnz .LBB21_2075
; %bb.2074:
	v_cvt_i32_f32_e32 v1, v10
	global_store_short v[4:5], v1, off
.LBB21_2075:
	s_mov_b64 s[0:1], 0
.LBB21_2076:
	s_andn2_b64 vcc, exec, s[0:1]
	s_cbranch_vccnz .LBB21_2081
; %bb.2077:
	v_mov_b32_e32 v1, 0
	v_cmp_gt_i16_sdwa s[2:3], s16, v1 src0_sel:BYTE_0 src1_sel:DWORD
	s_mov_b64 s[0:1], -1
	s_and_b64 vcc, exec, s[2:3]
	s_cbranch_vccz .LBB21_2079
; %bb.2078:
	v_cvt_i32_f32_e32 v1, v10
	s_mov_b64 s[0:1], 0
	global_store_byte v[4:5], v1, off
.LBB21_2079:
	s_andn2_b64 vcc, exec, s[0:1]
	s_cbranch_vccnz .LBB21_2081
; %bb.2080:
	v_trunc_f32_e32 v1, v10
	s_mov_b32 s0, 0x2f800000
	v_mul_f32_e64 v3, |v1|, s0
	v_floor_f32_e32 v3, v3
	s_mov_b32 s0, 0xcf800000
	v_fma_f32 v3, v3, s0, |v1|
	v_cvt_u32_f32_e32 v3, v3
	v_ashrrev_i32_e32 v1, 31, v1
	v_xor_b32_e32 v3, v3, v1
	v_sub_u32_e32 v1, v3, v1
	global_store_byte v[4:5], v1, off
.LBB21_2081:
	s_mov_b64 s[4:5], -1
.LBB21_2082:
	s_andn2_b64 vcc, exec, s[4:5]
	s_cbranch_vccnz .LBB21_2286
; %bb.2083:
	v_mov_b32_e32 v1, s9
	v_add_co_u32_e32 v2, vcc, s8, v2
	v_addc_co_u32_e32 v3, vcc, 0, v1, vcc
	v_mov_b32_e32 v1, 11
	v_cmp_lt_i16_sdwa s[0:1], s16, v1 src0_sel:BYTE_0 src1_sel:DWORD
	s_and_b64 vcc, exec, s[0:1]
	s_cbranch_vccnz .LBB21_2090
; %bb.2084:
	v_mov_b32_e32 v1, 25
	v_cmp_gt_i16_sdwa s[0:1], s16, v1 src0_sel:BYTE_0 src1_sel:DWORD
	s_mov_b64 s[10:11], -1
	s_mov_b64 s[2:3], 0
	s_and_b64 vcc, exec, s[0:1]
	s_mov_b64 s[4:5], 0
	s_mov_b64 s[0:1], 0
	s_cbranch_vccz .LBB21_2126
; %bb.2085:
	v_mov_b32_e32 v1, 28
	v_cmp_gt_i16_sdwa s[0:1], s16, v1 src0_sel:BYTE_0 src1_sel:DWORD
	s_and_b64 vcc, exec, s[0:1]
	s_cbranch_vccz .LBB21_2091
; %bb.2086:
	v_mov_b32_e32 v1, 43
	v_cmp_gt_i16_sdwa s[0:1], s16, v1 src0_sel:BYTE_0 src1_sel:DWORD
	s_and_b64 vcc, exec, s[0:1]
	;; [unrolled: 5-line block ×3, first 2 shown]
	s_cbranch_vccz .LBB21_2098
; %bb.2088:
	v_mov_b32_e32 v1, 46
	v_cmp_eq_u16_sdwa s[4:5], s16, v1 src0_sel:BYTE_0 src1_sel:DWORD
	s_mov_b64 s[0:1], -1
	s_mov_b64 s[10:11], 0
	s_and_b64 vcc, exec, s[4:5]
	s_mov_b64 s[4:5], 0
	s_cbranch_vccz .LBB21_2099
; %bb.2089:
	v_bfe_u32 v1, v14, 16, 1
	s_movk_i32 s0, 0x7fff
	v_add3_u32 v1, v14, v1, s0
	v_lshrrev_b32_e32 v1, 16, v1
	v_mov_b32_e32 v4, 0x7fc0
	v_cmp_o_f32_e32 vcc, v14, v14
	v_cndmask_b32_e32 v1, v4, v1, vcc
	global_store_dword v[2:3], v1, off
	s_mov_b64 s[0:1], 0
	s_mov_b64 s[4:5], -1
	s_branch .LBB21_2099
.LBB21_2090:
	s_mov_b64 s[0:1], -1
	s_mov_b64 s[4:5], 0
	s_branch .LBB21_2170
.LBB21_2091:
	s_mov_b64 s[0:1], 0
	s_branch .LBB21_2109
.LBB21_2092:
	s_or_saveexec_b64 s[14:15], s[14:15]
                                        ; implicit-def: $sgpr17
	s_xor_b64 exec, exec, s[14:15]
	s_cbranch_execz .LBB21_1993
.LBB21_2093:
	s_mov_b32 s17, 0x46000000
	v_add_f32_e64 v1, |v10|, s17
	v_and_b32_e32 v1, 0xff, v1
	v_cmp_ne_u32_e32 vcc, 0, v1
	s_andn2_b64 s[10:11], s[10:11], exec
	s_and_b64 s[18:19], vcc, exec
	s_mov_b32 s17, 0
	s_or_b64 s[10:11], s[10:11], s[18:19]
	s_or_b64 exec, exec, s[14:15]
	v_mov_b32_e32 v3, s17
	s_and_saveexec_b64 s[14:15], s[10:11]
	s_cbranch_execnz .LBB21_1994
	s_branch .LBB21_1995
.LBB21_2094:
	s_mov_b64 s[0:1], 0
	s_branch .LBB21_2105
.LBB21_2095:
	s_trap 2
	s_or_b64 s[12:13], s[12:13], exec
	s_cbranch_execz .LBB21_2041
	s_branch .LBB21_2042
.LBB21_2096:
	s_or_saveexec_b64 s[10:11], s[10:11]
                                        ; implicit-def: $sgpr14
	s_xor_b64 exec, exec, s[10:11]
	s_cbranch_execz .LBB21_2006
.LBB21_2097:
	s_mov_b32 s14, 0x42800000
	v_add_f32_e64 v1, |v10|, s14
	v_and_b32_e32 v1, 0xff, v1
	v_cmp_ne_u32_e32 vcc, 0, v1
	s_andn2_b64 s[4:5], s[4:5], exec
	s_and_b64 s[18:19], vcc, exec
	s_mov_b32 s14, 0
	s_or_b64 s[4:5], s[4:5], s[18:19]
	s_or_b64 exec, exec, s[10:11]
	v_mov_b32_e32 v3, s14
	s_and_saveexec_b64 s[10:11], s[4:5]
	s_cbranch_execnz .LBB21_2007
	s_branch .LBB21_2008
.LBB21_2098:
	s_mov_b64 s[0:1], 0
.LBB21_2099:
	s_and_b64 vcc, exec, s[10:11]
	s_cbranch_vccz .LBB21_2104
; %bb.2100:
	v_mov_b32_e32 v1, 44
	v_cmp_eq_u16_sdwa s[10:11], s16, v1 src0_sel:BYTE_0 src1_sel:DWORD
	s_mov_b64 s[0:1], -1
	s_and_b64 vcc, exec, s[10:11]
	s_cbranch_vccz .LBB21_2104
; %bb.2101:
	v_bfe_u32 v1, v14, 23, 8
	s_movk_i32 s0, 0xff
	v_cmp_ne_u32_e32 vcc, s0, v1
	v_mov_b32_e32 v4, 0xff
	s_and_saveexec_b64 s[4:5], vcc
; %bb.2102:
	s_mov_b32 s0, 0x3fffff
	v_and_b32_e32 v5, 0x400000, v14
	v_and_or_b32 v1, v14, s0, v1
	v_cmp_ne_u32_e32 vcc, 0, v5
	v_cmp_ne_u32_e64 s[0:1], 0, v1
	s_and_b64 s[0:1], vcc, s[0:1]
	v_lshrrev_b32_e32 v4, 23, v14
	v_cndmask_b32_e64 v1, 0, 1, s[0:1]
	v_add_u32_e32 v4, v4, v1
; %bb.2103:
	s_or_b64 exec, exec, s[4:5]
	s_mov_b64 s[0:1], 0
	s_mov_b64 s[4:5], -1
	global_store_byte v[2:3], v4, off
.LBB21_2104:
	s_mov_b64 s[10:11], 0
.LBB21_2105:
	s_and_b64 vcc, exec, s[10:11]
	s_cbranch_vccz .LBB21_2108
; %bb.2106:
	v_mov_b32_e32 v1, 29
	v_cmp_eq_u16_sdwa s[10:11], s16, v1 src0_sel:BYTE_0 src1_sel:DWORD
	s_mov_b64 s[0:1], -1
	s_and_b64 vcc, exec, s[10:11]
	s_cbranch_vccz .LBB21_2108
; %bb.2107:
	v_trunc_f32_e32 v1, v14
	v_mul_f32_e32 v4, 0x2f800000, v1
	v_floor_f32_e32 v4, v4
	v_fmac_f32_e32 v1, 0xcf800000, v4
	v_cvt_u32_f32_e32 v5, v4
	v_cvt_u32_f32_e32 v4, v1
	s_mov_b64 s[0:1], 0
	s_mov_b64 s[4:5], -1
	s_mov_b64 s[10:11], 0
	global_store_dwordx2 v[2:3], v[4:5], off
	s_branch .LBB21_2109
.LBB21_2108:
	s_mov_b64 s[10:11], 0
.LBB21_2109:
	s_and_b64 vcc, exec, s[10:11]
	s_cbranch_vccz .LBB21_2125
; %bb.2110:
	v_mov_b32_e32 v1, 27
	v_cmp_lt_i16_sdwa s[10:11], s16, v1 src0_sel:BYTE_0 src1_sel:DWORD
	s_mov_b64 s[4:5], -1
	s_and_b64 vcc, exec, s[10:11]
	s_cbranch_vccnz .LBB21_2116
; %bb.2111:
	v_cmp_gt_i16_sdwa s[10:11], s16, v1 src0_sel:BYTE_0 src1_sel:DWORD
	v_cvt_u32_f32_e32 v1, v14
	s_and_b64 vcc, exec, s[10:11]
	s_cbranch_vccz .LBB21_2113
; %bb.2112:
	s_mov_b64 s[4:5], 0
	global_store_dword v[2:3], v1, off
.LBB21_2113:
	s_andn2_b64 vcc, exec, s[4:5]
	s_cbranch_vccnz .LBB21_2115
; %bb.2114:
	global_store_short v[2:3], v1, off
.LBB21_2115:
	s_mov_b64 s[4:5], 0
.LBB21_2116:
	s_andn2_b64 vcc, exec, s[4:5]
	s_cbranch_vccnz .LBB21_2124
; %bb.2117:
	v_and_b32_e32 v1, 0x7fffffff, v14
	s_mov_b32 s4, 0x43800000
	v_cmp_gt_u32_e32 vcc, s4, v1
	v_mov_b32_e32 v4, 0x80
	s_and_saveexec_b64 s[4:5], vcc
	s_cbranch_execz .LBB21_2123
; %bb.2118:
	s_mov_b32 s10, 0x3bffffff
	v_cmp_lt_u32_e32 vcc, s10, v1
	s_mov_b64 s[10:11], 0
                                        ; implicit-def: $vgpr1
	s_and_saveexec_b64 s[14:15], vcc
	s_xor_b64 s[14:15], exec, s[14:15]
	s_cbranch_execz .LBB21_2288
; %bb.2119:
	v_bfe_u32 v1, v14, 20, 1
	s_mov_b32 s17, 0x487ffff
	v_add3_u32 v1, v14, v1, s17
	s_mov_b64 s[10:11], exec
	v_lshrrev_b32_e32 v1, 20, v1
	s_or_saveexec_b64 s[14:15], s[14:15]
                                        ; implicit-def: $sgpr17
	s_xor_b64 exec, exec, s[14:15]
	s_cbranch_execnz .LBB21_2289
.LBB21_2120:
	s_or_b64 exec, exec, s[14:15]
	v_mov_b32_e32 v4, s17
	s_and_saveexec_b64 s[14:15], s[10:11]
.LBB21_2121:
	v_lshrrev_b32_e32 v4, 24, v14
	s_movk_i32 s10, 0x80
	v_and_or_b32 v4, v4, s10, v1
.LBB21_2122:
	s_or_b64 exec, exec, s[14:15]
.LBB21_2123:
	s_or_b64 exec, exec, s[4:5]
	global_store_byte v[2:3], v4, off
.LBB21_2124:
	s_mov_b64 s[4:5], -1
.LBB21_2125:
	s_mov_b64 s[10:11], 0
.LBB21_2126:
	s_and_b64 vcc, exec, s[10:11]
	s_cbranch_vccz .LBB21_2166
; %bb.2127:
	v_mov_b32_e32 v1, 22
	v_cmp_gt_i16_sdwa s[10:11], s16, v1 src0_sel:BYTE_0 src1_sel:DWORD
	s_mov_b64 s[2:3], -1
	s_and_b64 vcc, exec, s[10:11]
	s_cbranch_vccz .LBB21_2159
; %bb.2128:
	v_mov_b32_e32 v1, 24
	v_cmp_lt_i16_sdwa s[4:5], s16, v1 src0_sel:BYTE_0 src1_sel:DWORD
	s_and_b64 vcc, exec, s[4:5]
	s_cbranch_vccnz .LBB21_2148
; %bb.2129:
	v_cmp_gt_i16_sdwa s[4:5], s16, v1 src0_sel:BYTE_0 src1_sel:DWORD
	s_and_b64 vcc, exec, s[4:5]
	s_cbranch_vccz .LBB21_2137
; %bb.2130:
	v_and_b32_e32 v1, 0x7fffffff, v14
	s_mov_b32 s2, 0x47800000
	v_cmp_gt_u32_e32 vcc, s2, v1
	v_mov_b32_e32 v4, 0x80
	s_and_saveexec_b64 s[2:3], vcc
	s_cbranch_execz .LBB21_2136
; %bb.2131:
	s_mov_b32 s4, 0x37ffffff
	v_cmp_lt_u32_e32 vcc, s4, v1
	s_mov_b64 s[4:5], 0
                                        ; implicit-def: $vgpr1
	s_and_saveexec_b64 s[10:11], vcc
	s_xor_b64 s[10:11], exec, s[10:11]
	s_cbranch_execz .LBB21_2291
; %bb.2132:
	v_bfe_u32 v1, v14, 21, 1
	s_mov_b32 s14, 0x88fffff
	v_add3_u32 v1, v14, v1, s14
	s_mov_b64 s[4:5], exec
	v_lshrrev_b32_e32 v1, 21, v1
	s_or_saveexec_b64 s[10:11], s[10:11]
                                        ; implicit-def: $sgpr14
	s_xor_b64 exec, exec, s[10:11]
	s_cbranch_execnz .LBB21_2292
.LBB21_2133:
	s_or_b64 exec, exec, s[10:11]
	v_mov_b32_e32 v4, s14
	s_and_saveexec_b64 s[10:11], s[4:5]
.LBB21_2134:
	v_lshrrev_b32_e32 v4, 24, v14
	s_movk_i32 s4, 0x80
	v_and_or_b32 v4, v4, s4, v1
.LBB21_2135:
	s_or_b64 exec, exec, s[10:11]
.LBB21_2136:
	s_or_b64 exec, exec, s[2:3]
	s_mov_b64 s[2:3], 0
	global_store_byte v[2:3], v4, off
.LBB21_2137:
	s_and_b64 vcc, exec, s[2:3]
	s_cbranch_vccz .LBB21_2147
; %bb.2138:
	v_and_b32_e32 v4, 0x7fffffff, v14
	s_mov_b32 s2, 0x43f00000
	v_cmp_gt_u32_e32 vcc, s2, v4
                                        ; implicit-def: $vgpr1
	s_and_saveexec_b64 s[2:3], vcc
	s_xor_b64 s[2:3], exec, s[2:3]
	s_cbranch_execz .LBB21_2144
; %bb.2139:
	s_mov_b32 s4, 0x3c7fffff
	v_cmp_lt_u32_e32 vcc, s4, v4
                                        ; implicit-def: $vgpr1
	s_and_saveexec_b64 s[4:5], vcc
	s_xor_b64 s[4:5], exec, s[4:5]
; %bb.2140:
	v_bfe_u32 v1, v14, 20, 1
	s_mov_b32 s10, 0x407ffff
	v_add3_u32 v1, v14, v1, s10
	v_lshrrev_b32_e32 v4, 20, v1
	v_and_b32_e32 v1, 0xff00000, v1
	s_mov_b32 s10, 0x7f00000
	v_mov_b32_e32 v5, 0x7e
	v_cmp_ne_u32_e32 vcc, s10, v1
	v_cndmask_b32_e32 v1, v5, v4, vcc
; %bb.2141:
	s_andn2_saveexec_b64 s[4:5], s[4:5]
; %bb.2142:
	s_mov_b32 s10, 0x46800000
	v_add_f32_e64 v1, |v14|, s10
; %bb.2143:
	s_or_b64 exec, exec, s[4:5]
                                        ; implicit-def: $vgpr4
.LBB21_2144:
	s_andn2_saveexec_b64 s[2:3], s[2:3]
; %bb.2145:
	s_mov_b32 s4, 0x7f800000
	v_mov_b32_e32 v1, 0x7e
	v_mov_b32_e32 v5, 0x7f
	v_cmp_lt_u32_e32 vcc, s4, v4
	v_cndmask_b32_e32 v1, v1, v5, vcc
; %bb.2146:
	s_or_b64 exec, exec, s[2:3]
	v_lshrrev_b32_e32 v4, 24, v14
	s_movk_i32 s2, 0x80
	v_and_or_b32 v1, v4, s2, v1
	global_store_byte v[2:3], v1, off
.LBB21_2147:
	s_mov_b64 s[2:3], 0
.LBB21_2148:
	s_andn2_b64 vcc, exec, s[2:3]
	s_cbranch_vccnz .LBB21_2158
; %bb.2149:
	v_and_b32_e32 v4, 0x7fffffff, v14
	s_mov_b32 s2, 0x47800000
	v_cmp_gt_u32_e32 vcc, s2, v4
                                        ; implicit-def: $vgpr1
	s_and_saveexec_b64 s[2:3], vcc
	s_xor_b64 s[2:3], exec, s[2:3]
	s_cbranch_execz .LBB21_2155
; %bb.2150:
	s_mov_b32 s4, 0x387fffff
	v_cmp_lt_u32_e32 vcc, s4, v4
                                        ; implicit-def: $vgpr1
	s_and_saveexec_b64 s[4:5], vcc
	s_xor_b64 s[4:5], exec, s[4:5]
; %bb.2151:
	v_bfe_u32 v1, v14, 21, 1
	s_mov_b32 s10, 0x80fffff
	v_add3_u32 v1, v14, v1, s10
	v_lshrrev_b32_e32 v1, 21, v1
; %bb.2152:
	s_andn2_saveexec_b64 s[4:5], s[4:5]
; %bb.2153:
	s_mov_b32 s10, 0x43000000
	v_add_f32_e64 v1, |v14|, s10
; %bb.2154:
	s_or_b64 exec, exec, s[4:5]
                                        ; implicit-def: $vgpr4
.LBB21_2155:
	s_andn2_saveexec_b64 s[2:3], s[2:3]
; %bb.2156:
	s_mov_b32 s4, 0x7f800000
	v_mov_b32_e32 v1, 0x7c
	v_mov_b32_e32 v5, 0x7f
	v_cmp_lt_u32_e32 vcc, s4, v4
	v_cndmask_b32_e32 v1, v1, v5, vcc
; %bb.2157:
	s_or_b64 exec, exec, s[2:3]
	v_lshrrev_b32_e32 v4, 24, v14
	s_movk_i32 s2, 0x80
	v_and_or_b32 v1, v4, s2, v1
	global_store_byte v[2:3], v1, off
.LBB21_2158:
	s_mov_b64 s[2:3], 0
	s_mov_b64 s[4:5], -1
.LBB21_2159:
	s_andn2_b64 vcc, exec, s[2:3]
	s_mov_b64 s[2:3], 0
	s_cbranch_vccnz .LBB21_2166
; %bb.2160:
	v_mov_b32_e32 v1, 14
	v_cmp_gt_i16_sdwa s[2:3], s16, v1 src0_sel:BYTE_0 src1_sel:DWORD
	s_mov_b64 s[10:11], -1
	s_and_b64 vcc, exec, s[2:3]
	s_cbranch_vccz .LBB21_2164
; %bb.2161:
	v_mov_b32_e32 v1, 15
	v_cmp_eq_u16_sdwa s[2:3], s16, v1 src0_sel:BYTE_0 src1_sel:DWORD
	s_mov_b64 s[0:1], -1
	s_and_b64 vcc, exec, s[2:3]
	s_cbranch_vccz .LBB21_2163
; %bb.2162:
	v_bfe_u32 v1, v14, 16, 1
	s_movk_i32 s0, 0x7fff
	v_add3_u32 v1, v14, v1, s0
	v_lshrrev_b32_e32 v1, 16, v1
	v_mov_b32_e32 v4, 0x7fc0
	v_cmp_o_f32_e32 vcc, v14, v14
	v_cndmask_b32_e32 v1, v4, v1, vcc
	global_store_short v[2:3], v1, off
	s_mov_b64 s[0:1], 0
	s_mov_b64 s[4:5], -1
.LBB21_2163:
	s_mov_b64 s[10:11], 0
.LBB21_2164:
	s_mov_b64 s[2:3], 0
	s_and_b64 vcc, exec, s[10:11]
	s_cbranch_vccz .LBB21_2166
; %bb.2165:
	v_mov_b32_e32 v1, 11
	v_cmp_ne_u16_sdwa s[0:1], s16, v1 src0_sel:BYTE_0 src1_sel:DWORD
	s_mov_b64 s[2:3], -1
.LBB21_2166:
	s_and_b64 vcc, exec, s[0:1]
	s_cbranch_vccnz .LBB21_2290
; %bb.2167:
	s_andn2_b64 vcc, exec, s[2:3]
	s_cbranch_vccnz .LBB21_2169
.LBB21_2168:
	v_cmp_neq_f32_e32 vcc, 0, v14
	v_cndmask_b32_e64 v1, 0, 1, vcc
	s_mov_b64 s[4:5], -1
	global_store_byte v[2:3], v1, off
.LBB21_2169:
	s_mov_b64 s[0:1], 0
.LBB21_2170:
	s_and_b64 vcc, exec, s[0:1]
	s_cbranch_vccz .LBB21_2209
; %bb.2171:
	v_mov_b32_e32 v1, 5
	v_cmp_lt_i16_sdwa s[2:3], s16, v1 src0_sel:BYTE_0 src1_sel:DWORD
	s_mov_b64 s[0:1], -1
	s_and_b64 vcc, exec, s[2:3]
	s_cbranch_vccnz .LBB21_2192
; %bb.2172:
	v_mov_b32_e32 v1, 8
	v_cmp_lt_i16_sdwa s[2:3], s16, v1 src0_sel:BYTE_0 src1_sel:DWORD
	s_and_b64 vcc, exec, s[2:3]
	s_cbranch_vccnz .LBB21_2182
; %bb.2173:
	v_mov_b32_e32 v1, 9
	v_cmp_lt_i16_sdwa s[2:3], s16, v1 src0_sel:BYTE_0 src1_sel:DWORD
	s_and_b64 vcc, exec, s[2:3]
	s_cbranch_vccnz .LBB21_2179
; %bb.2174:
	v_cmp_gt_i16_sdwa s[2:3], s16, v1 src0_sel:BYTE_0 src1_sel:DWORD
	s_and_b64 vcc, exec, s[2:3]
	s_cbranch_vccz .LBB21_2176
; %bb.2175:
	v_mov_b32_e32 v6, 0
	v_cvt_f64_f32_e32 v[4:5], v14
	v_mov_b32_e32 v7, v6
	global_store_dwordx4 v[2:3], v[4:7], off
	s_mov_b64 s[0:1], 0
.LBB21_2176:
	s_andn2_b64 vcc, exec, s[0:1]
	s_cbranch_vccnz .LBB21_2178
; %bb.2177:
	v_mov_b32_e32 v15, 0
	global_store_dwordx2 v[2:3], v[14:15], off
.LBB21_2178:
	s_mov_b64 s[0:1], 0
.LBB21_2179:
	s_andn2_b64 vcc, exec, s[0:1]
	s_cbranch_vccnz .LBB21_2181
; %bb.2180:
	v_cvt_f16_f32_e32 v1, v14
	global_store_dword v[2:3], v1, off
.LBB21_2181:
	s_mov_b64 s[0:1], 0
.LBB21_2182:
	s_andn2_b64 vcc, exec, s[0:1]
	s_cbranch_vccnz .LBB21_2191
; %bb.2183:
	v_mov_b32_e32 v1, 6
	v_cmp_lt_i16_sdwa s[2:3], s16, v1 src0_sel:BYTE_0 src1_sel:DWORD
	s_mov_b64 s[0:1], -1
	s_and_b64 vcc, exec, s[2:3]
	s_cbranch_vccnz .LBB21_2189
; %bb.2184:
	v_cmp_gt_i16_sdwa s[2:3], s16, v1 src0_sel:BYTE_0 src1_sel:DWORD
	s_and_b64 vcc, exec, s[2:3]
	s_cbranch_vccz .LBB21_2186
; %bb.2185:
	v_cvt_f64_f32_e32 v[4:5], v14
	global_store_dwordx2 v[2:3], v[4:5], off
	s_mov_b64 s[0:1], 0
.LBB21_2186:
	s_andn2_b64 vcc, exec, s[0:1]
	s_cbranch_vccnz .LBB21_2188
; %bb.2187:
	global_store_dword v[2:3], v14, off
.LBB21_2188:
	s_mov_b64 s[0:1], 0
.LBB21_2189:
	s_andn2_b64 vcc, exec, s[0:1]
	s_cbranch_vccnz .LBB21_2191
; %bb.2190:
	v_cvt_f16_f32_e32 v1, v14
	global_store_short v[2:3], v1, off
.LBB21_2191:
	s_mov_b64 s[0:1], 0
.LBB21_2192:
	s_andn2_b64 vcc, exec, s[0:1]
	s_cbranch_vccnz .LBB21_2208
; %bb.2193:
	v_mov_b32_e32 v1, 2
	v_cmp_lt_i16_sdwa s[2:3], s16, v1 src0_sel:BYTE_0 src1_sel:DWORD
	s_mov_b64 s[0:1], -1
	s_and_b64 vcc, exec, s[2:3]
	s_cbranch_vccnz .LBB21_2203
; %bb.2194:
	v_mov_b32_e32 v1, 3
	v_cmp_lt_i16_sdwa s[2:3], s16, v1 src0_sel:BYTE_0 src1_sel:DWORD
	s_and_b64 vcc, exec, s[2:3]
	s_cbranch_vccnz .LBB21_2200
; %bb.2195:
	v_cmp_gt_i16_sdwa s[2:3], s16, v1 src0_sel:BYTE_0 src1_sel:DWORD
	s_and_b64 vcc, exec, s[2:3]
	s_cbranch_vccz .LBB21_2197
; %bb.2196:
	v_trunc_f32_e32 v1, v14
	s_mov_b32 s0, 0x2f800000
	v_mul_f32_e64 v4, |v1|, s0
	v_floor_f32_e32 v4, v4
	s_mov_b32 s0, 0xcf800000
	v_cvt_u32_f32_e32 v5, v4
	v_fma_f32 v4, v4, s0, |v1|
	v_cvt_u32_f32_e32 v4, v4
	v_ashrrev_i32_e32 v1, 31, v1
	v_xor_b32_e32 v5, v5, v1
	s_mov_b64 s[0:1], 0
	v_xor_b32_e32 v4, v4, v1
	v_sub_co_u32_e32 v4, vcc, v4, v1
	v_subb_co_u32_e32 v5, vcc, v5, v1, vcc
	global_store_dwordx2 v[2:3], v[4:5], off
.LBB21_2197:
	s_andn2_b64 vcc, exec, s[0:1]
	s_cbranch_vccnz .LBB21_2199
; %bb.2198:
	v_cvt_i32_f32_e32 v1, v14
	global_store_dword v[2:3], v1, off
.LBB21_2199:
	s_mov_b64 s[0:1], 0
.LBB21_2200:
	s_andn2_b64 vcc, exec, s[0:1]
	s_cbranch_vccnz .LBB21_2202
; %bb.2201:
	v_cvt_i32_f32_e32 v1, v14
	global_store_short v[2:3], v1, off
.LBB21_2202:
	s_mov_b64 s[0:1], 0
.LBB21_2203:
	s_andn2_b64 vcc, exec, s[0:1]
	s_cbranch_vccnz .LBB21_2208
; %bb.2204:
	v_mov_b32_e32 v1, 0
	v_cmp_gt_i16_sdwa s[2:3], s16, v1 src0_sel:BYTE_0 src1_sel:DWORD
	s_mov_b64 s[0:1], -1
	s_and_b64 vcc, exec, s[2:3]
	s_cbranch_vccz .LBB21_2206
; %bb.2205:
	v_cvt_i32_f32_e32 v1, v14
	s_mov_b64 s[0:1], 0
	global_store_byte v[2:3], v1, off
.LBB21_2206:
	s_andn2_b64 vcc, exec, s[0:1]
	s_cbranch_vccnz .LBB21_2208
; %bb.2207:
	v_trunc_f32_e32 v1, v14
	s_mov_b32 s0, 0x2f800000
	v_mul_f32_e64 v4, |v1|, s0
	v_floor_f32_e32 v4, v4
	s_mov_b32 s0, 0xcf800000
	v_fma_f32 v4, v4, s0, |v1|
	v_cvt_u32_f32_e32 v4, v4
	v_ashrrev_i32_e32 v1, 31, v1
	v_xor_b32_e32 v4, v4, v1
	v_sub_u32_e32 v1, v4, v1
	global_store_byte v[2:3], v1, off
.LBB21_2208:
	s_mov_b64 s[4:5], -1
.LBB21_2209:
	s_andn2_b64 vcc, exec, s[4:5]
	s_cbranch_vccnz .LBB21_2286
; %bb.2210:
	v_mov_b32_e32 v1, 0xff
	v_and_b32_e32 v2, s16, v1
	v_mov_b32_e32 v1, s9
	v_add_co_u32_e32 v0, vcc, s8, v0
	v_addc_co_u32_e32 v1, vcc, 0, v1, vcc
	v_cmp_gt_i16_e32 vcc, 11, v2
	s_cbranch_vccnz .LBB21_2287
; %bb.2211:
	v_cmp_lt_i16_e32 vcc, 25, v2
	s_mov_b64 s[4:5], -1
	s_mov_b64 s[2:3], 0
	s_mov_b64 s[0:1], 0
	s_cbranch_vccz .LBB21_2244
; %bb.2212:
	v_cmp_lt_i16_e32 vcc, 28, v2
	s_cbranch_vccz .LBB21_2228
; %bb.2213:
	v_cmp_lt_i16_e32 vcc, 43, v2
	s_cbranch_vccz .LBB21_2224
; %bb.2214:
	v_cmp_lt_i16_e32 vcc, 45, v2
	s_cbranch_vccz .LBB21_2218
; %bb.2215:
	v_cmp_eq_u16_e32 vcc, 46, v2
	s_mov_b64 s[0:1], -1
	s_cbranch_vccz .LBB21_2217
; %bb.2216:
	v_bfe_u32 v3, v12, 16, 1
	s_movk_i32 s0, 0x7fff
	v_add3_u32 v3, v12, v3, s0
	v_lshrrev_b32_e32 v3, 16, v3
	v_mov_b32_e32 v4, 0x7fc0
	v_cmp_o_f32_e32 vcc, v12, v12
	v_cndmask_b32_e32 v3, v4, v3, vcc
	global_store_dword v[0:1], v3, off
	s_mov_b64 s[0:1], 0
.LBB21_2217:
	s_mov_b64 s[4:5], 0
.LBB21_2218:
	s_and_b64 vcc, exec, s[4:5]
	s_cbranch_vccz .LBB21_2223
; %bb.2219:
	v_cmp_eq_u16_e32 vcc, 44, v2
	s_mov_b64 s[0:1], -1
	s_cbranch_vccz .LBB21_2223
; %bb.2220:
	v_bfe_u32 v3, v12, 23, 8
	s_movk_i32 s0, 0xff
	v_cmp_ne_u32_e32 vcc, s0, v3
	v_mov_b32_e32 v4, 0xff
	s_and_saveexec_b64 s[4:5], vcc
; %bb.2221:
	s_mov_b32 s0, 0x3fffff
	v_and_b32_e32 v5, 0x400000, v12
	v_and_or_b32 v3, v12, s0, v3
	v_cmp_ne_u32_e32 vcc, 0, v5
	v_cmp_ne_u32_e64 s[0:1], 0, v3
	s_and_b64 s[0:1], vcc, s[0:1]
	v_lshrrev_b32_e32 v4, 23, v12
	v_cndmask_b32_e64 v3, 0, 1, s[0:1]
	v_add_u32_e32 v4, v4, v3
; %bb.2222:
	s_or_b64 exec, exec, s[4:5]
	s_mov_b64 s[0:1], 0
	global_store_byte v[0:1], v4, off
.LBB21_2223:
	s_mov_b64 s[4:5], 0
.LBB21_2224:
	s_and_b64 vcc, exec, s[4:5]
	s_cbranch_vccz .LBB21_2227
; %bb.2225:
	v_cmp_eq_u16_e32 vcc, 29, v2
	s_mov_b64 s[0:1], -1
	s_cbranch_vccz .LBB21_2227
; %bb.2226:
	v_trunc_f32_e32 v3, v12
	v_mul_f32_e32 v4, 0x2f800000, v3
	v_floor_f32_e32 v4, v4
	v_fmac_f32_e32 v3, 0xcf800000, v4
	v_cvt_u32_f32_e32 v5, v4
	v_cvt_u32_f32_e32 v4, v3
	s_mov_b64 s[0:1], 0
	global_store_dwordx2 v[0:1], v[4:5], off
.LBB21_2227:
	s_mov_b64 s[4:5], 0
.LBB21_2228:
	s_and_b64 vcc, exec, s[4:5]
	s_cbranch_vccz .LBB21_2243
; %bb.2229:
	v_cmp_gt_i16_e32 vcc, 27, v2
	s_mov_b64 s[4:5], -1
	s_cbranch_vccnz .LBB21_2235
; %bb.2230:
	v_cmp_lt_i16_e32 vcc, 27, v2
	s_cbranch_vccz .LBB21_2232
; %bb.2231:
	v_cvt_u32_f32_e32 v3, v12
	s_mov_b64 s[4:5], 0
	global_store_dword v[0:1], v3, off
.LBB21_2232:
	s_andn2_b64 vcc, exec, s[4:5]
	s_cbranch_vccnz .LBB21_2234
; %bb.2233:
	v_cvt_u32_f32_e32 v3, v12
	global_store_short v[0:1], v3, off
.LBB21_2234:
	s_mov_b64 s[4:5], 0
.LBB21_2235:
	s_andn2_b64 vcc, exec, s[4:5]
	s_cbranch_vccnz .LBB21_2243
; %bb.2236:
	v_and_b32_e32 v3, 0x7fffffff, v12
	s_mov_b32 s4, 0x43800000
	v_cmp_gt_u32_e32 vcc, s4, v3
	v_mov_b32_e32 v4, 0x80
	s_and_saveexec_b64 s[4:5], vcc
	s_cbranch_execz .LBB21_2242
; %bb.2237:
	s_mov_b32 s8, 0x3bffffff
	v_cmp_lt_u32_e32 vcc, s8, v3
	s_mov_b64 s[8:9], 0
                                        ; implicit-def: $vgpr3
	s_and_saveexec_b64 s[10:11], vcc
	s_xor_b64 s[10:11], exec, s[10:11]
	s_cbranch_execz .LBB21_2293
; %bb.2238:
	v_bfe_u32 v3, v12, 20, 1
	s_mov_b32 s14, 0x487ffff
	v_add3_u32 v3, v12, v3, s14
	s_mov_b64 s[8:9], exec
	v_lshrrev_b32_e32 v3, 20, v3
	s_or_saveexec_b64 s[10:11], s[10:11]
                                        ; implicit-def: $sgpr14
	s_xor_b64 exec, exec, s[10:11]
	s_cbranch_execnz .LBB21_2294
.LBB21_2239:
	s_or_b64 exec, exec, s[10:11]
	v_mov_b32_e32 v4, s14
	s_and_saveexec_b64 s[10:11], s[8:9]
.LBB21_2240:
	v_lshrrev_b32_e32 v4, 24, v12
	s_movk_i32 s8, 0x80
	v_and_or_b32 v4, v4, s8, v3
.LBB21_2241:
	s_or_b64 exec, exec, s[10:11]
.LBB21_2242:
	s_or_b64 exec, exec, s[4:5]
	global_store_byte v[0:1], v4, off
.LBB21_2243:
	s_mov_b64 s[4:5], 0
.LBB21_2244:
	s_and_b64 vcc, exec, s[4:5]
	s_cbranch_vccz .LBB21_2284
; %bb.2245:
	v_cmp_lt_i16_e32 vcc, 22, v2
	s_mov_b64 s[2:3], -1
	s_cbranch_vccz .LBB21_2277
; %bb.2246:
	v_cmp_gt_i16_e32 vcc, 24, v2
	s_cbranch_vccnz .LBB21_2266
; %bb.2247:
	v_cmp_lt_i16_e32 vcc, 24, v2
	s_cbranch_vccz .LBB21_2255
; %bb.2248:
	v_and_b32_e32 v3, 0x7fffffff, v12
	s_mov_b32 s2, 0x47800000
	v_cmp_gt_u32_e32 vcc, s2, v3
	v_mov_b32_e32 v4, 0x80
	s_and_saveexec_b64 s[2:3], vcc
	s_cbranch_execz .LBB21_2254
; %bb.2249:
	s_mov_b32 s4, 0x37ffffff
	v_cmp_lt_u32_e32 vcc, s4, v3
	s_mov_b64 s[4:5], 0
                                        ; implicit-def: $vgpr3
	s_and_saveexec_b64 s[8:9], vcc
	s_xor_b64 s[8:9], exec, s[8:9]
	s_cbranch_execz .LBB21_2296
; %bb.2250:
	v_bfe_u32 v3, v12, 21, 1
	s_mov_b32 s10, 0x88fffff
	v_add3_u32 v3, v12, v3, s10
	s_mov_b64 s[4:5], exec
	v_lshrrev_b32_e32 v3, 21, v3
	s_or_saveexec_b64 s[8:9], s[8:9]
                                        ; implicit-def: $sgpr10
	s_xor_b64 exec, exec, s[8:9]
	s_cbranch_execnz .LBB21_2297
.LBB21_2251:
	s_or_b64 exec, exec, s[8:9]
	v_mov_b32_e32 v4, s10
	s_and_saveexec_b64 s[8:9], s[4:5]
.LBB21_2252:
	v_lshrrev_b32_e32 v4, 24, v12
	s_movk_i32 s4, 0x80
	v_and_or_b32 v4, v4, s4, v3
.LBB21_2253:
	s_or_b64 exec, exec, s[8:9]
.LBB21_2254:
	s_or_b64 exec, exec, s[2:3]
	s_mov_b64 s[2:3], 0
	global_store_byte v[0:1], v4, off
.LBB21_2255:
	s_and_b64 vcc, exec, s[2:3]
	s_cbranch_vccz .LBB21_2265
; %bb.2256:
	v_and_b32_e32 v4, 0x7fffffff, v12
	s_mov_b32 s2, 0x43f00000
	v_cmp_gt_u32_e32 vcc, s2, v4
                                        ; implicit-def: $vgpr3
	s_and_saveexec_b64 s[2:3], vcc
	s_xor_b64 s[2:3], exec, s[2:3]
	s_cbranch_execz .LBB21_2262
; %bb.2257:
	s_mov_b32 s4, 0x3c7fffff
	v_cmp_lt_u32_e32 vcc, s4, v4
                                        ; implicit-def: $vgpr3
	s_and_saveexec_b64 s[4:5], vcc
	s_xor_b64 s[4:5], exec, s[4:5]
; %bb.2258:
	v_bfe_u32 v3, v12, 20, 1
	s_mov_b32 s8, 0x407ffff
	v_add3_u32 v3, v12, v3, s8
	v_lshrrev_b32_e32 v4, 20, v3
	v_and_b32_e32 v3, 0xff00000, v3
	s_mov_b32 s8, 0x7f00000
	v_mov_b32_e32 v5, 0x7e
	v_cmp_ne_u32_e32 vcc, s8, v3
	v_cndmask_b32_e32 v3, v5, v4, vcc
; %bb.2259:
	s_andn2_saveexec_b64 s[4:5], s[4:5]
; %bb.2260:
	s_mov_b32 s8, 0x46800000
	v_add_f32_e64 v3, |v12|, s8
; %bb.2261:
	s_or_b64 exec, exec, s[4:5]
                                        ; implicit-def: $vgpr4
.LBB21_2262:
	s_andn2_saveexec_b64 s[2:3], s[2:3]
; %bb.2263:
	s_mov_b32 s4, 0x7f800000
	v_mov_b32_e32 v3, 0x7e
	v_mov_b32_e32 v5, 0x7f
	v_cmp_lt_u32_e32 vcc, s4, v4
	v_cndmask_b32_e32 v3, v3, v5, vcc
; %bb.2264:
	s_or_b64 exec, exec, s[2:3]
	v_lshrrev_b32_e32 v4, 24, v12
	s_movk_i32 s2, 0x80
	v_and_or_b32 v3, v4, s2, v3
	global_store_byte v[0:1], v3, off
.LBB21_2265:
	s_mov_b64 s[2:3], 0
.LBB21_2266:
	s_andn2_b64 vcc, exec, s[2:3]
	s_cbranch_vccnz .LBB21_2276
; %bb.2267:
	v_and_b32_e32 v4, 0x7fffffff, v12
	s_mov_b32 s2, 0x47800000
	v_cmp_gt_u32_e32 vcc, s2, v4
                                        ; implicit-def: $vgpr3
	s_and_saveexec_b64 s[2:3], vcc
	s_xor_b64 s[2:3], exec, s[2:3]
	s_cbranch_execz .LBB21_2273
; %bb.2268:
	s_mov_b32 s4, 0x387fffff
	v_cmp_lt_u32_e32 vcc, s4, v4
                                        ; implicit-def: $vgpr3
	s_and_saveexec_b64 s[4:5], vcc
	s_xor_b64 s[4:5], exec, s[4:5]
; %bb.2269:
	v_bfe_u32 v3, v12, 21, 1
	s_mov_b32 s8, 0x80fffff
	v_add3_u32 v3, v12, v3, s8
	v_lshrrev_b32_e32 v3, 21, v3
; %bb.2270:
	s_andn2_saveexec_b64 s[4:5], s[4:5]
; %bb.2271:
	s_mov_b32 s8, 0x43000000
	v_add_f32_e64 v3, |v12|, s8
; %bb.2272:
	s_or_b64 exec, exec, s[4:5]
                                        ; implicit-def: $vgpr4
.LBB21_2273:
	s_andn2_saveexec_b64 s[2:3], s[2:3]
; %bb.2274:
	s_mov_b32 s4, 0x7f800000
	v_mov_b32_e32 v3, 0x7c
	v_mov_b32_e32 v5, 0x7f
	v_cmp_lt_u32_e32 vcc, s4, v4
	v_cndmask_b32_e32 v3, v3, v5, vcc
; %bb.2275:
	s_or_b64 exec, exec, s[2:3]
	v_lshrrev_b32_e32 v4, 24, v12
	s_movk_i32 s2, 0x80
	v_and_or_b32 v3, v4, s2, v3
	global_store_byte v[0:1], v3, off
.LBB21_2276:
	s_mov_b64 s[2:3], 0
.LBB21_2277:
	s_andn2_b64 vcc, exec, s[2:3]
	s_mov_b64 s[2:3], 0
	s_cbranch_vccnz .LBB21_2284
; %bb.2278:
	v_cmp_lt_i16_e32 vcc, 14, v2
	s_mov_b64 s[4:5], -1
	s_cbranch_vccz .LBB21_2282
; %bb.2279:
	v_cmp_eq_u16_e32 vcc, 15, v2
	s_mov_b64 s[0:1], -1
	s_cbranch_vccz .LBB21_2281
; %bb.2280:
	v_bfe_u32 v3, v12, 16, 1
	s_movk_i32 s0, 0x7fff
	v_add3_u32 v3, v12, v3, s0
	v_lshrrev_b32_e32 v3, 16, v3
	v_mov_b32_e32 v4, 0x7fc0
	v_cmp_o_f32_e32 vcc, v12, v12
	v_cndmask_b32_e32 v3, v4, v3, vcc
	global_store_short v[0:1], v3, off
	s_mov_b64 s[0:1], 0
.LBB21_2281:
	s_mov_b64 s[4:5], 0
.LBB21_2282:
	s_and_b64 vcc, exec, s[4:5]
	s_cbranch_vccz .LBB21_2284
; %bb.2283:
	v_cmp_ne_u16_e64 s[0:1], 11, v2
	s_mov_b64 s[2:3], -1
.LBB21_2284:
	s_and_b64 vcc, exec, s[0:1]
	s_cbranch_vccnz .LBB21_2295
.LBB21_2285:
	s_mov_b64 s[0:1], 0
	s_branch .LBB21_1782
.LBB21_2286:
	s_mov_b64 s[0:1], 0
                                        ; implicit-def: $vgpr0_vgpr1
                                        ; implicit-def: $vgpr2
	s_branch .LBB21_1781
.LBB21_2287:
	s_mov_b64 s[2:3], 0
	s_mov_b64 s[0:1], -1
	s_branch .LBB21_1782
.LBB21_2288:
	s_or_saveexec_b64 s[14:15], s[14:15]
                                        ; implicit-def: $sgpr17
	s_xor_b64 exec, exec, s[14:15]
	s_cbranch_execz .LBB21_2120
.LBB21_2289:
	s_mov_b32 s17, 0x46000000
	v_add_f32_e64 v1, |v14|, s17
	v_and_b32_e32 v1, 0xff, v1
	v_cmp_ne_u32_e32 vcc, 0, v1
	s_andn2_b64 s[10:11], s[10:11], exec
	s_and_b64 s[18:19], vcc, exec
	s_mov_b32 s17, 0
	s_or_b64 s[10:11], s[10:11], s[18:19]
	s_or_b64 exec, exec, s[14:15]
	v_mov_b32_e32 v4, s17
	s_and_saveexec_b64 s[14:15], s[10:11]
	s_cbranch_execnz .LBB21_2121
	s_branch .LBB21_2122
.LBB21_2290:
	s_trap 2
	s_or_b64 s[12:13], s[12:13], exec
	s_cbranch_execz .LBB21_2168
	s_branch .LBB21_2169
.LBB21_2291:
	s_or_saveexec_b64 s[10:11], s[10:11]
                                        ; implicit-def: $sgpr14
	s_xor_b64 exec, exec, s[10:11]
	s_cbranch_execz .LBB21_2133
.LBB21_2292:
	s_mov_b32 s14, 0x42800000
	v_add_f32_e64 v1, |v14|, s14
	v_and_b32_e32 v1, 0xff, v1
	v_cmp_ne_u32_e32 vcc, 0, v1
	s_andn2_b64 s[4:5], s[4:5], exec
	s_and_b64 s[18:19], vcc, exec
	s_mov_b32 s14, 0
	s_or_b64 s[4:5], s[4:5], s[18:19]
	s_or_b64 exec, exec, s[10:11]
	v_mov_b32_e32 v4, s14
	s_and_saveexec_b64 s[10:11], s[4:5]
	s_cbranch_execnz .LBB21_2134
	s_branch .LBB21_2135
.LBB21_2293:
	s_or_saveexec_b64 s[10:11], s[10:11]
                                        ; implicit-def: $sgpr14
	s_xor_b64 exec, exec, s[10:11]
	s_cbranch_execz .LBB21_2239
.LBB21_2294:
	s_mov_b32 s14, 0x46000000
	v_add_f32_e64 v3, |v12|, s14
	v_and_b32_e32 v3, 0xff, v3
	v_cmp_ne_u32_e32 vcc, 0, v3
	s_andn2_b64 s[8:9], s[8:9], exec
	s_and_b64 s[16:17], vcc, exec
	s_mov_b32 s14, 0
	s_or_b64 s[8:9], s[8:9], s[16:17]
	s_or_b64 exec, exec, s[10:11]
	v_mov_b32_e32 v4, s14
	s_and_saveexec_b64 s[10:11], s[8:9]
	s_cbranch_execnz .LBB21_2240
	s_branch .LBB21_2241
.LBB21_2295:
	s_mov_b64 s[2:3], 0
	s_or_b64 s[12:13], s[12:13], exec
	s_trap 2
	s_branch .LBB21_2285
.LBB21_2296:
	s_or_saveexec_b64 s[8:9], s[8:9]
                                        ; implicit-def: $sgpr10
	s_xor_b64 exec, exec, s[8:9]
	s_cbranch_execz .LBB21_2251
.LBB21_2297:
	s_mov_b32 s10, 0x42800000
	v_add_f32_e64 v3, |v12|, s10
	v_and_b32_e32 v3, 0xff, v3
	v_cmp_ne_u32_e32 vcc, 0, v3
	s_andn2_b64 s[4:5], s[4:5], exec
	s_and_b64 s[14:15], vcc, exec
	s_mov_b32 s10, 0
	s_or_b64 s[4:5], s[4:5], s[14:15]
	s_or_b64 exec, exec, s[8:9]
	v_mov_b32_e32 v4, s10
	s_and_saveexec_b64 s[8:9], s[4:5]
	s_cbranch_execnz .LBB21_2252
	s_branch .LBB21_2253
	.section	.rodata,"a",@progbits
	.p2align	6, 0x0
	.amdhsa_kernel _ZN2at6native32elementwise_kernel_manual_unrollILi128ELi4EZNS0_15gpu_kernel_implIZZZNS0_12_GLOBAL__N_121bessel_j0_kernel_cudaERNS_18TensorIteratorBaseEENKUlvE_clEvENKUlvE0_clEvEUlfE_EEvS5_RKT_EUlibE0_EEviT1_
		.amdhsa_group_segment_fixed_size 0
		.amdhsa_private_segment_fixed_size 0
		.amdhsa_kernarg_size 360
		.amdhsa_user_sgpr_count 6
		.amdhsa_user_sgpr_private_segment_buffer 1
		.amdhsa_user_sgpr_dispatch_ptr 0
		.amdhsa_user_sgpr_queue_ptr 0
		.amdhsa_user_sgpr_kernarg_segment_ptr 1
		.amdhsa_user_sgpr_dispatch_id 0
		.amdhsa_user_sgpr_flat_scratch_init 0
		.amdhsa_user_sgpr_kernarg_preload_length 0
		.amdhsa_user_sgpr_kernarg_preload_offset 0
		.amdhsa_user_sgpr_private_segment_size 0
		.amdhsa_uses_dynamic_stack 0
		.amdhsa_system_sgpr_private_segment_wavefront_offset 0
		.amdhsa_system_sgpr_workgroup_id_x 1
		.amdhsa_system_sgpr_workgroup_id_y 0
		.amdhsa_system_sgpr_workgroup_id_z 0
		.amdhsa_system_sgpr_workgroup_info 0
		.amdhsa_system_vgpr_workitem_id 0
		.amdhsa_next_free_vgpr 32
		.amdhsa_next_free_sgpr 76
		.amdhsa_accum_offset 32
		.amdhsa_reserve_vcc 1
		.amdhsa_reserve_flat_scratch 0
		.amdhsa_float_round_mode_32 0
		.amdhsa_float_round_mode_16_64 0
		.amdhsa_float_denorm_mode_32 3
		.amdhsa_float_denorm_mode_16_64 3
		.amdhsa_dx10_clamp 1
		.amdhsa_ieee_mode 1
		.amdhsa_fp16_overflow 0
		.amdhsa_tg_split 0
		.amdhsa_exception_fp_ieee_invalid_op 0
		.amdhsa_exception_fp_denorm_src 0
		.amdhsa_exception_fp_ieee_div_zero 0
		.amdhsa_exception_fp_ieee_overflow 0
		.amdhsa_exception_fp_ieee_underflow 0
		.amdhsa_exception_fp_ieee_inexact 0
		.amdhsa_exception_int_div_zero 0
	.end_amdhsa_kernel
	.section	.text._ZN2at6native32elementwise_kernel_manual_unrollILi128ELi4EZNS0_15gpu_kernel_implIZZZNS0_12_GLOBAL__N_121bessel_j0_kernel_cudaERNS_18TensorIteratorBaseEENKUlvE_clEvENKUlvE0_clEvEUlfE_EEvS5_RKT_EUlibE0_EEviT1_,"axG",@progbits,_ZN2at6native32elementwise_kernel_manual_unrollILi128ELi4EZNS0_15gpu_kernel_implIZZZNS0_12_GLOBAL__N_121bessel_j0_kernel_cudaERNS_18TensorIteratorBaseEENKUlvE_clEvENKUlvE0_clEvEUlfE_EEvS5_RKT_EUlibE0_EEviT1_,comdat
.Lfunc_end21:
	.size	_ZN2at6native32elementwise_kernel_manual_unrollILi128ELi4EZNS0_15gpu_kernel_implIZZZNS0_12_GLOBAL__N_121bessel_j0_kernel_cudaERNS_18TensorIteratorBaseEENKUlvE_clEvENKUlvE0_clEvEUlfE_EEvS5_RKT_EUlibE0_EEviT1_, .Lfunc_end21-_ZN2at6native32elementwise_kernel_manual_unrollILi128ELi4EZNS0_15gpu_kernel_implIZZZNS0_12_GLOBAL__N_121bessel_j0_kernel_cudaERNS_18TensorIteratorBaseEENKUlvE_clEvENKUlvE0_clEvEUlfE_EEvS5_RKT_EUlibE0_EEviT1_
                                        ; -- End function
	.section	.AMDGPU.csdata,"",@progbits
; Kernel info:
; codeLenInByte = 63588
; NumSgprs: 80
; NumVgprs: 32
; NumAgprs: 0
; TotalNumVgprs: 32
; ScratchSize: 0
; MemoryBound: 1
; FloatMode: 240
; IeeeMode: 1
; LDSByteSize: 0 bytes/workgroup (compile time only)
; SGPRBlocks: 9
; VGPRBlocks: 3
; NumSGPRsForWavesPerEU: 80
; NumVGPRsForWavesPerEU: 32
; AccumOffset: 32
; Occupancy: 8
; WaveLimiterHint : 1
; COMPUTE_PGM_RSRC2:SCRATCH_EN: 0
; COMPUTE_PGM_RSRC2:USER_SGPR: 6
; COMPUTE_PGM_RSRC2:TRAP_HANDLER: 0
; COMPUTE_PGM_RSRC2:TGID_X_EN: 1
; COMPUTE_PGM_RSRC2:TGID_Y_EN: 0
; COMPUTE_PGM_RSRC2:TGID_Z_EN: 0
; COMPUTE_PGM_RSRC2:TIDIG_COMP_CNT: 0
; COMPUTE_PGM_RSRC3_GFX90A:ACCUM_OFFSET: 7
; COMPUTE_PGM_RSRC3_GFX90A:TG_SPLIT: 0
	.text
	.p2alignl 6, 3212836864
	.fill 256, 4, 3212836864
	.type	__hip_cuid_8c4421ce9c2c3c1d,@object ; @__hip_cuid_8c4421ce9c2c3c1d
	.section	.bss,"aw",@nobits
	.globl	__hip_cuid_8c4421ce9c2c3c1d
__hip_cuid_8c4421ce9c2c3c1d:
	.byte	0                               ; 0x0
	.size	__hip_cuid_8c4421ce9c2c3c1d, 1

	.ident	"AMD clang version 19.0.0git (https://github.com/RadeonOpenCompute/llvm-project roc-6.4.0 25133 c7fe45cf4b819c5991fe208aaa96edf142730f1d)"
	.section	".note.GNU-stack","",@progbits
	.addrsig
	.addrsig_sym __hip_cuid_8c4421ce9c2c3c1d
	.amdgpu_metadata
---
amdhsa.kernels:
  - .agpr_count:     0
    .args:
      - .offset:         0
        .size:           4
        .value_kind:     by_value
      - .offset:         4
        .size:           1
        .value_kind:     by_value
      - .offset:         8
        .size:           16
        .value_kind:     by_value
    .group_segment_fixed_size: 0
    .kernarg_segment_align: 8
    .kernarg_segment_size: 24
    .language:       OpenCL C
    .language_version:
      - 2
      - 0
    .max_flat_workgroup_size: 256
    .name:           _ZN2at6native29vectorized_elementwise_kernelILi16EZZZNS0_12_GLOBAL__N_121bessel_j0_kernel_cudaERNS_18TensorIteratorBaseEENKUlvE_clEvENKUlvE_clEvEUldE_St5arrayIPcLm2EEEEviT0_T1_
    .private_segment_fixed_size: 8
    .sgpr_count:     47
    .sgpr_spill_count: 0
    .symbol:         _ZN2at6native29vectorized_elementwise_kernelILi16EZZZNS0_12_GLOBAL__N_121bessel_j0_kernel_cudaERNS_18TensorIteratorBaseEENKUlvE_clEvENKUlvE_clEvEUldE_St5arrayIPcLm2EEEEviT0_T1_.kd
    .uniform_work_group_size: 1
    .uses_dynamic_stack: false
    .vgpr_count:     68
    .vgpr_spill_count: 0
    .wavefront_size: 64
  - .agpr_count:     0
    .args:
      - .offset:         0
        .size:           4
        .value_kind:     by_value
      - .offset:         4
        .size:           1
        .value_kind:     by_value
      - .offset:         8
        .size:           16
        .value_kind:     by_value
    .group_segment_fixed_size: 0
    .kernarg_segment_align: 8
    .kernarg_segment_size: 24
    .language:       OpenCL C
    .language_version:
      - 2
      - 0
    .max_flat_workgroup_size: 256
    .name:           _ZN2at6native29vectorized_elementwise_kernelILi8EZZZNS0_12_GLOBAL__N_121bessel_j0_kernel_cudaERNS_18TensorIteratorBaseEENKUlvE_clEvENKUlvE_clEvEUldE_St5arrayIPcLm2EEEEviT0_T1_
    .private_segment_fixed_size: 8
    .sgpr_count:     47
    .sgpr_spill_count: 0
    .symbol:         _ZN2at6native29vectorized_elementwise_kernelILi8EZZZNS0_12_GLOBAL__N_121bessel_j0_kernel_cudaERNS_18TensorIteratorBaseEENKUlvE_clEvENKUlvE_clEvEUldE_St5arrayIPcLm2EEEEviT0_T1_.kd
    .uniform_work_group_size: 1
    .uses_dynamic_stack: false
    .vgpr_count:     68
    .vgpr_spill_count: 0
    .wavefront_size: 64
  - .agpr_count:     0
    .args:
      - .offset:         0
        .size:           4
        .value_kind:     by_value
      - .offset:         4
        .size:           1
        .value_kind:     by_value
      - .offset:         8
        .size:           16
        .value_kind:     by_value
    .group_segment_fixed_size: 0
    .kernarg_segment_align: 8
    .kernarg_segment_size: 24
    .language:       OpenCL C
    .language_version:
      - 2
      - 0
    .max_flat_workgroup_size: 256
    .name:           _ZN2at6native29vectorized_elementwise_kernelILi4EZZZNS0_12_GLOBAL__N_121bessel_j0_kernel_cudaERNS_18TensorIteratorBaseEENKUlvE_clEvENKUlvE_clEvEUldE_St5arrayIPcLm2EEEEviT0_T1_
    .private_segment_fixed_size: 8
    .sgpr_count:     47
    .sgpr_spill_count: 0
    .symbol:         _ZN2at6native29vectorized_elementwise_kernelILi4EZZZNS0_12_GLOBAL__N_121bessel_j0_kernel_cudaERNS_18TensorIteratorBaseEENKUlvE_clEvENKUlvE_clEvEUldE_St5arrayIPcLm2EEEEviT0_T1_.kd
    .uniform_work_group_size: 1
    .uses_dynamic_stack: false
    .vgpr_count:     68
    .vgpr_spill_count: 0
    .wavefront_size: 64
  - .agpr_count:     0
    .args:
      - .offset:         0
        .size:           4
        .value_kind:     by_value
      - .offset:         4
        .size:           1
        .value_kind:     by_value
      - .offset:         8
        .size:           16
        .value_kind:     by_value
    .group_segment_fixed_size: 0
    .kernarg_segment_align: 8
    .kernarg_segment_size: 24
    .language:       OpenCL C
    .language_version:
      - 2
      - 0
    .max_flat_workgroup_size: 256
    .name:           _ZN2at6native29vectorized_elementwise_kernelILi2EZZZNS0_12_GLOBAL__N_121bessel_j0_kernel_cudaERNS_18TensorIteratorBaseEENKUlvE_clEvENKUlvE_clEvEUldE_St5arrayIPcLm2EEEEviT0_T1_
    .private_segment_fixed_size: 8
    .sgpr_count:     48
    .sgpr_spill_count: 0
    .symbol:         _ZN2at6native29vectorized_elementwise_kernelILi2EZZZNS0_12_GLOBAL__N_121bessel_j0_kernel_cudaERNS_18TensorIteratorBaseEENKUlvE_clEvENKUlvE_clEvEUldE_St5arrayIPcLm2EEEEviT0_T1_.kd
    .uniform_work_group_size: 1
    .uses_dynamic_stack: false
    .vgpr_count:     68
    .vgpr_spill_count: 0
    .wavefront_size: 64
  - .agpr_count:     0
    .args:
      - .offset:         0
        .size:           4
        .value_kind:     by_value
      - .offset:         4
        .size:           1
        .value_kind:     by_value
      - .offset:         8
        .size:           16
        .value_kind:     by_value
      - .offset:         24
        .size:           1
        .value_kind:     by_value
      - .offset:         25
        .size:           1
        .value_kind:     by_value
      - .offset:         26
        .size:           1
        .value_kind:     by_value
      - .offset:         27
        .size:           1
        .value_kind:     by_value
    .group_segment_fixed_size: 0
    .kernarg_segment_align: 8
    .kernarg_segment_size: 28
    .language:       OpenCL C
    .language_version:
      - 2
      - 0
    .max_flat_workgroup_size: 256
    .name:           _ZN2at6native27unrolled_elementwise_kernelIZZZNS0_12_GLOBAL__N_121bessel_j0_kernel_cudaERNS_18TensorIteratorBaseEENKUlvE_clEvENKUlvE_clEvEUldE_St5arrayIPcLm2EELi4E23TrivialOffsetCalculatorILi1EjESC_NS0_6memory15LoadWithoutCastENSD_16StoreWithoutCastEEEviT_T0_T2_T3_T4_T5_
    .private_segment_fixed_size: 8
    .sgpr_count:     46
    .sgpr_spill_count: 0
    .symbol:         _ZN2at6native27unrolled_elementwise_kernelIZZZNS0_12_GLOBAL__N_121bessel_j0_kernel_cudaERNS_18TensorIteratorBaseEENKUlvE_clEvENKUlvE_clEvEUldE_St5arrayIPcLm2EELi4E23TrivialOffsetCalculatorILi1EjESC_NS0_6memory15LoadWithoutCastENSD_16StoreWithoutCastEEEviT_T0_T2_T3_T4_T5_.kd
    .uniform_work_group_size: 1
    .uses_dynamic_stack: false
    .vgpr_count:     68
    .vgpr_spill_count: 0
    .wavefront_size: 64
  - .agpr_count:     0
    .args:
      - .offset:         0
        .size:           4
        .value_kind:     by_value
      - .offset:         8
        .size:           352
        .value_kind:     by_value
    .group_segment_fixed_size: 0
    .kernarg_segment_align: 8
    .kernarg_segment_size: 360
    .language:       OpenCL C
    .language_version:
      - 2
      - 0
    .max_flat_workgroup_size: 128
    .name:           _ZN2at6native32elementwise_kernel_manual_unrollILi128ELi4EZNS0_22gpu_kernel_impl_nocastIZZZNS0_12_GLOBAL__N_121bessel_j0_kernel_cudaERNS_18TensorIteratorBaseEENKUlvE_clEvENKUlvE_clEvEUldE_EEvS5_RKT_EUlibE_EEviT1_
    .private_segment_fixed_size: 0
    .sgpr_count:     66
    .sgpr_spill_count: 0
    .symbol:         _ZN2at6native32elementwise_kernel_manual_unrollILi128ELi4EZNS0_22gpu_kernel_impl_nocastIZZZNS0_12_GLOBAL__N_121bessel_j0_kernel_cudaERNS_18TensorIteratorBaseEENKUlvE_clEvENKUlvE_clEvEUldE_EEvS5_RKT_EUlibE_EEviT1_.kd
    .uniform_work_group_size: 1
    .uses_dynamic_stack: false
    .vgpr_count:     46
    .vgpr_spill_count: 0
    .wavefront_size: 64
  - .agpr_count:     0
    .args:
      - .offset:         0
        .size:           4
        .value_kind:     by_value
      - .offset:         8
        .size:           32
        .value_kind:     by_value
    .group_segment_fixed_size: 0
    .kernarg_segment_align: 8
    .kernarg_segment_size: 40
    .language:       OpenCL C
    .language_version:
      - 2
      - 0
    .max_flat_workgroup_size: 128
    .name:           _ZN2at6native32elementwise_kernel_manual_unrollILi128ELi4EZNS0_15gpu_kernel_implIZZZNS0_12_GLOBAL__N_121bessel_j0_kernel_cudaERNS_18TensorIteratorBaseEENKUlvE_clEvENKUlvE_clEvEUldE_EEvS5_RKT_EUlibE_EEviT1_
    .private_segment_fixed_size: 8
    .sgpr_count:     66
    .sgpr_spill_count: 0
    .symbol:         _ZN2at6native32elementwise_kernel_manual_unrollILi128ELi4EZNS0_15gpu_kernel_implIZZZNS0_12_GLOBAL__N_121bessel_j0_kernel_cudaERNS_18TensorIteratorBaseEENKUlvE_clEvENKUlvE_clEvEUldE_EEvS5_RKT_EUlibE_EEviT1_.kd
    .uniform_work_group_size: 1
    .uses_dynamic_stack: false
    .vgpr_count:     47
    .vgpr_spill_count: 0
    .wavefront_size: 64
  - .agpr_count:     0
    .args:
      - .offset:         0
        .size:           4
        .value_kind:     by_value
      - .offset:         8
        .size:           352
        .value_kind:     by_value
    .group_segment_fixed_size: 0
    .kernarg_segment_align: 8
    .kernarg_segment_size: 360
    .language:       OpenCL C
    .language_version:
      - 2
      - 0
    .max_flat_workgroup_size: 128
    .name:           _ZN2at6native32elementwise_kernel_manual_unrollILi128ELi4EZNS0_15gpu_kernel_implIZZZNS0_12_GLOBAL__N_121bessel_j0_kernel_cudaERNS_18TensorIteratorBaseEENKUlvE_clEvENKUlvE_clEvEUldE_EEvS5_RKT_EUlibE0_EEviT1_
    .private_segment_fixed_size: 8
    .sgpr_count:     88
    .sgpr_spill_count: 0
    .symbol:         _ZN2at6native32elementwise_kernel_manual_unrollILi128ELi4EZNS0_15gpu_kernel_implIZZZNS0_12_GLOBAL__N_121bessel_j0_kernel_cudaERNS_18TensorIteratorBaseEENKUlvE_clEvENKUlvE_clEvEUldE_EEvS5_RKT_EUlibE0_EEviT1_.kd
    .uniform_work_group_size: 1
    .uses_dynamic_stack: false
    .vgpr_count:     56
    .vgpr_spill_count: 0
    .wavefront_size: 64
  - .agpr_count:     0
    .args:
      - .offset:         0
        .size:           4
        .value_kind:     by_value
      - .offset:         4
        .size:           1
        .value_kind:     by_value
      - .offset:         8
        .size:           16
        .value_kind:     by_value
    .group_segment_fixed_size: 0
    .kernarg_segment_align: 8
    .kernarg_segment_size: 24
    .language:       OpenCL C
    .language_version:
      - 2
      - 0
    .max_flat_workgroup_size: 256
    .name:           _ZN2at6native29vectorized_elementwise_kernelILi16EZZZNS0_12_GLOBAL__N_121bessel_j0_kernel_cudaERNS_18TensorIteratorBaseEENKUlvE_clEvENKUlvE0_clEvEUlfE_St5arrayIPcLm2EEEEviT0_T1_
    .private_segment_fixed_size: 0
    .sgpr_count:     39
    .sgpr_spill_count: 0
    .symbol:         _ZN2at6native29vectorized_elementwise_kernelILi16EZZZNS0_12_GLOBAL__N_121bessel_j0_kernel_cudaERNS_18TensorIteratorBaseEENKUlvE_clEvENKUlvE0_clEvEUlfE_St5arrayIPcLm2EEEEviT0_T1_.kd
    .uniform_work_group_size: 1
    .uses_dynamic_stack: false
    .vgpr_count:     33
    .vgpr_spill_count: 0
    .wavefront_size: 64
  - .agpr_count:     0
    .args:
      - .offset:         0
        .size:           4
        .value_kind:     by_value
      - .offset:         4
        .size:           1
        .value_kind:     by_value
      - .offset:         8
        .size:           16
        .value_kind:     by_value
    .group_segment_fixed_size: 0
    .kernarg_segment_align: 8
    .kernarg_segment_size: 24
    .language:       OpenCL C
    .language_version:
      - 2
      - 0
    .max_flat_workgroup_size: 256
    .name:           _ZN2at6native29vectorized_elementwise_kernelILi8EZZZNS0_12_GLOBAL__N_121bessel_j0_kernel_cudaERNS_18TensorIteratorBaseEENKUlvE_clEvENKUlvE0_clEvEUlfE_St5arrayIPcLm2EEEEviT0_T1_
    .private_segment_fixed_size: 0
    .sgpr_count:     39
    .sgpr_spill_count: 0
    .symbol:         _ZN2at6native29vectorized_elementwise_kernelILi8EZZZNS0_12_GLOBAL__N_121bessel_j0_kernel_cudaERNS_18TensorIteratorBaseEENKUlvE_clEvENKUlvE0_clEvEUlfE_St5arrayIPcLm2EEEEviT0_T1_.kd
    .uniform_work_group_size: 1
    .uses_dynamic_stack: false
    .vgpr_count:     33
    .vgpr_spill_count: 0
    .wavefront_size: 64
  - .agpr_count:     0
    .args:
      - .offset:         0
        .size:           4
        .value_kind:     by_value
      - .offset:         4
        .size:           1
        .value_kind:     by_value
      - .offset:         8
        .size:           16
        .value_kind:     by_value
    .group_segment_fixed_size: 0
    .kernarg_segment_align: 8
    .kernarg_segment_size: 24
    .language:       OpenCL C
    .language_version:
      - 2
      - 0
    .max_flat_workgroup_size: 256
    .name:           _ZN2at6native29vectorized_elementwise_kernelILi4EZZZNS0_12_GLOBAL__N_121bessel_j0_kernel_cudaERNS_18TensorIteratorBaseEENKUlvE_clEvENKUlvE0_clEvEUlfE_St5arrayIPcLm2EEEEviT0_T1_
    .private_segment_fixed_size: 0
    .sgpr_count:     39
    .sgpr_spill_count: 0
    .symbol:         _ZN2at6native29vectorized_elementwise_kernelILi4EZZZNS0_12_GLOBAL__N_121bessel_j0_kernel_cudaERNS_18TensorIteratorBaseEENKUlvE_clEvENKUlvE0_clEvEUlfE_St5arrayIPcLm2EEEEviT0_T1_.kd
    .uniform_work_group_size: 1
    .uses_dynamic_stack: false
    .vgpr_count:     33
    .vgpr_spill_count: 0
    .wavefront_size: 64
  - .agpr_count:     0
    .args:
      - .offset:         0
        .size:           4
        .value_kind:     by_value
      - .offset:         4
        .size:           1
        .value_kind:     by_value
      - .offset:         8
        .size:           16
        .value_kind:     by_value
    .group_segment_fixed_size: 0
    .kernarg_segment_align: 8
    .kernarg_segment_size: 24
    .language:       OpenCL C
    .language_version:
      - 2
      - 0
    .max_flat_workgroup_size: 256
    .name:           _ZN2at6native29vectorized_elementwise_kernelILi2EZZZNS0_12_GLOBAL__N_121bessel_j0_kernel_cudaERNS_18TensorIteratorBaseEENKUlvE_clEvENKUlvE0_clEvEUlfE_St5arrayIPcLm2EEEEviT0_T1_
    .private_segment_fixed_size: 0
    .sgpr_count:     39
    .sgpr_spill_count: 0
    .symbol:         _ZN2at6native29vectorized_elementwise_kernelILi2EZZZNS0_12_GLOBAL__N_121bessel_j0_kernel_cudaERNS_18TensorIteratorBaseEENKUlvE_clEvENKUlvE0_clEvEUlfE_St5arrayIPcLm2EEEEviT0_T1_.kd
    .uniform_work_group_size: 1
    .uses_dynamic_stack: false
    .vgpr_count:     33
    .vgpr_spill_count: 0
    .wavefront_size: 64
  - .agpr_count:     0
    .args:
      - .offset:         0
        .size:           4
        .value_kind:     by_value
      - .offset:         4
        .size:           1
        .value_kind:     by_value
      - .offset:         8
        .size:           16
        .value_kind:     by_value
      - .offset:         24
        .size:           1
        .value_kind:     by_value
      - .offset:         25
        .size:           1
        .value_kind:     by_value
      - .offset:         26
        .size:           1
        .value_kind:     by_value
      - .offset:         27
        .size:           1
        .value_kind:     by_value
    .group_segment_fixed_size: 0
    .kernarg_segment_align: 8
    .kernarg_segment_size: 28
    .language:       OpenCL C
    .language_version:
      - 2
      - 0
    .max_flat_workgroup_size: 256
    .name:           _ZN2at6native27unrolled_elementwise_kernelIZZZNS0_12_GLOBAL__N_121bessel_j0_kernel_cudaERNS_18TensorIteratorBaseEENKUlvE_clEvENKUlvE0_clEvEUlfE_St5arrayIPcLm2EELi4E23TrivialOffsetCalculatorILi1EjESC_NS0_6memory15LoadWithoutCastENSD_16StoreWithoutCastEEEviT_T0_T2_T3_T4_T5_
    .private_segment_fixed_size: 0
    .sgpr_count:     39
    .sgpr_spill_count: 0
    .symbol:         _ZN2at6native27unrolled_elementwise_kernelIZZZNS0_12_GLOBAL__N_121bessel_j0_kernel_cudaERNS_18TensorIteratorBaseEENKUlvE_clEvENKUlvE0_clEvEUlfE_St5arrayIPcLm2EELi4E23TrivialOffsetCalculatorILi1EjESC_NS0_6memory15LoadWithoutCastENSD_16StoreWithoutCastEEEviT_T0_T2_T3_T4_T5_.kd
    .uniform_work_group_size: 1
    .uses_dynamic_stack: false
    .vgpr_count:     33
    .vgpr_spill_count: 0
    .wavefront_size: 64
  - .agpr_count:     0
    .args:
      - .offset:         0
        .size:           4
        .value_kind:     by_value
      - .offset:         8
        .size:           352
        .value_kind:     by_value
    .group_segment_fixed_size: 0
    .kernarg_segment_align: 8
    .kernarg_segment_size: 360
    .language:       OpenCL C
    .language_version:
      - 2
      - 0
    .max_flat_workgroup_size: 128
    .name:           _ZN2at6native32elementwise_kernel_manual_unrollILi128ELi4EZNS0_22gpu_kernel_impl_nocastIZZZNS0_12_GLOBAL__N_121bessel_j0_kernel_cudaERNS_18TensorIteratorBaseEENKUlvE_clEvENKUlvE0_clEvEUlfE_EEvS5_RKT_EUlibE_EEviT1_
    .private_segment_fixed_size: 0
    .sgpr_count:     64
    .sgpr_spill_count: 0
    .symbol:         _ZN2at6native32elementwise_kernel_manual_unrollILi128ELi4EZNS0_22gpu_kernel_impl_nocastIZZZNS0_12_GLOBAL__N_121bessel_j0_kernel_cudaERNS_18TensorIteratorBaseEENKUlvE_clEvENKUlvE0_clEvEUlfE_EEvS5_RKT_EUlibE_EEviT1_.kd
    .uniform_work_group_size: 1
    .uses_dynamic_stack: false
    .vgpr_count:     30
    .vgpr_spill_count: 0
    .wavefront_size: 64
  - .agpr_count:     0
    .args:
      - .offset:         0
        .size:           4
        .value_kind:     by_value
      - .offset:         8
        .size:           32
        .value_kind:     by_value
    .group_segment_fixed_size: 0
    .kernarg_segment_align: 8
    .kernarg_segment_size: 40
    .language:       OpenCL C
    .language_version:
      - 2
      - 0
    .max_flat_workgroup_size: 128
    .name:           _ZN2at6native32elementwise_kernel_manual_unrollILi128ELi4EZNS0_15gpu_kernel_implIZZZNS0_12_GLOBAL__N_121bessel_j0_kernel_cudaERNS_18TensorIteratorBaseEENKUlvE_clEvENKUlvE0_clEvEUlfE_EEvS5_RKT_EUlibE_EEviT1_
    .private_segment_fixed_size: 0
    .sgpr_count:     46
    .sgpr_spill_count: 0
    .symbol:         _ZN2at6native32elementwise_kernel_manual_unrollILi128ELi4EZNS0_15gpu_kernel_implIZZZNS0_12_GLOBAL__N_121bessel_j0_kernel_cudaERNS_18TensorIteratorBaseEENKUlvE_clEvENKUlvE0_clEvEUlfE_EEvS5_RKT_EUlibE_EEviT1_.kd
    .uniform_work_group_size: 1
    .uses_dynamic_stack: false
    .vgpr_count:     28
    .vgpr_spill_count: 0
    .wavefront_size: 64
  - .agpr_count:     0
    .args:
      - .offset:         0
        .size:           4
        .value_kind:     by_value
      - .offset:         8
        .size:           352
        .value_kind:     by_value
    .group_segment_fixed_size: 0
    .kernarg_segment_align: 8
    .kernarg_segment_size: 360
    .language:       OpenCL C
    .language_version:
      - 2
      - 0
    .max_flat_workgroup_size: 128
    .name:           _ZN2at6native32elementwise_kernel_manual_unrollILi128ELi4EZNS0_15gpu_kernel_implIZZZNS0_12_GLOBAL__N_121bessel_j0_kernel_cudaERNS_18TensorIteratorBaseEENKUlvE_clEvENKUlvE0_clEvEUlfE_EEvS5_RKT_EUlibE0_EEviT1_
    .private_segment_fixed_size: 0
    .sgpr_count:     80
    .sgpr_spill_count: 0
    .symbol:         _ZN2at6native32elementwise_kernel_manual_unrollILi128ELi4EZNS0_15gpu_kernel_implIZZZNS0_12_GLOBAL__N_121bessel_j0_kernel_cudaERNS_18TensorIteratorBaseEENKUlvE_clEvENKUlvE0_clEvEUlfE_EEvS5_RKT_EUlibE0_EEviT1_.kd
    .uniform_work_group_size: 1
    .uses_dynamic_stack: false
    .vgpr_count:     32
    .vgpr_spill_count: 0
    .wavefront_size: 64
amdhsa.target:   amdgcn-amd-amdhsa--gfx90a
amdhsa.version:
  - 1
  - 2
...

	.end_amdgpu_metadata
